;; amdgpu-corpus repo=llvm/llvm-project kind=harvested arch=n/a opt=n/a
// NOTE: Assertions have been autogenerated by utils/update_mc_test_checks.py UTC_ARGS: --unique --sort --version 6
// RUN: not llvm-mc -triple=amdgcn -mcpu=gfx1200 -mattr=+wavefrontsize32,-real-true16 -show-encoding %s | FileCheck --check-prefixes=GFX12,W32 %s
// RUN: not llvm-mc -triple=amdgcn -mcpu=gfx1200 -mattr=+wavefrontsize64,-real-true16 -show-encoding %s | FileCheck --check-prefixes=GFX12,W64 %s
// RUN: not llvm-mc -triple=amdgcn -mcpu=gfx1200 -mattr=+wavefrontsize32,-real-true16 -filetype=null %s 2>&1 | FileCheck --check-prefix=W32-ERR --implicit-check-not=error: %s
// RUN: not llvm-mc -triple=amdgcn -mcpu=gfx1200 -mattr=+wavefrontsize64,-real-true16 -filetype=null %s 2>&1 | FileCheck --check-prefix=W64-ERR --implicit-check-not=error: %s

v_add_co_ci_u32 v255, vcc, 0xaf123456, v255, vcc
// W32-ERR: :[[@LINE-1]]:1: error: operands are not valid for this GPU or mode
// W64: v_add_co_ci_u32_e32 v255, vcc, 0xaf123456, v255, vcc ; encoding: [0xff,0xfe,0xff,0x41,0x56,0x34,0x12,0xaf]

v_add_co_ci_u32 v255, vcc_lo, 0xaf123456, v255, vcc_lo
// W32: v_add_co_ci_u32_e32 v255, vcc_lo, 0xaf123456, v255, vcc_lo ; encoding: [0xff,0xfe,0xff,0x41,0x56,0x34,0x12,0xaf]
// W64-ERR: :[[@LINE-2]]:1: error: operands are not valid for this GPU or mode

v_add_co_ci_u32 v5, vcc, -1, v2, vcc
// W32-ERR: :[[@LINE-1]]:1: error: operands are not valid for this GPU or mode
// W64: v_add_co_ci_u32_e32 v5, vcc, -1, v2, vcc ; encoding: [0xc1,0x04,0x0a,0x40]

v_add_co_ci_u32 v5, vcc, 0.5, v2, vcc
// W32-ERR: :[[@LINE-1]]:1: error: operands are not valid for this GPU or mode
// W64: v_add_co_ci_u32_e32 v5, vcc, 0.5, v2, vcc ; encoding: [0xf0,0x04,0x0a,0x40]

v_add_co_ci_u32 v5, vcc, exec_hi, v2, vcc
// W32-ERR: :[[@LINE-1]]:1: error: operands are not valid for this GPU or mode
// W64: v_add_co_ci_u32_e32 v5, vcc, exec_hi, v2, vcc ; encoding: [0x7f,0x04,0x0a,0x40]

v_add_co_ci_u32 v5, vcc, exec_lo, v2, vcc
// W32-ERR: :[[@LINE-1]]:1: error: operands are not valid for this GPU or mode
// W64: v_add_co_ci_u32_e32 v5, vcc, exec_lo, v2, vcc ; encoding: [0x7e,0x04,0x0a,0x40]

v_add_co_ci_u32 v5, vcc, m0, v2, vcc
// W32-ERR: :[[@LINE-1]]:1: error: operands are not valid for this GPU or mode
// W64: v_add_co_ci_u32_e32 v5, vcc, m0, v2, vcc ; encoding: [0x7d,0x04,0x0a,0x40]

v_add_co_ci_u32 v5, vcc, null, v2, vcc
// W32-ERR: :[[@LINE-1]]:1: error: operands are not valid for this GPU or mode
// W64: v_add_co_ci_u32_e32 v5, vcc, null, v2, vcc ; encoding: [0x7c,0x04,0x0a,0x40]

v_add_co_ci_u32 v5, vcc, s1, v2, vcc
// W32-ERR: :[[@LINE-1]]:1: error: operands are not valid for this GPU or mode
// W64: v_add_co_ci_u32_e32 v5, vcc, s1, v2, vcc ; encoding: [0x01,0x04,0x0a,0x40]

v_add_co_ci_u32 v5, vcc, s105, v2, vcc
// W32-ERR: :[[@LINE-1]]:1: error: operands are not valid for this GPU or mode
// W64: v_add_co_ci_u32_e32 v5, vcc, s105, v2, vcc ; encoding: [0x69,0x04,0x0a,0x40]

v_add_co_ci_u32 v5, vcc, src_scc, v2, vcc
// W32-ERR: :[[@LINE-1]]:1: error: operands are not valid for this GPU or mode
// W64: v_add_co_ci_u32_e32 v5, vcc, src_scc, v2, vcc ; encoding: [0xfd,0x04,0x0a,0x40]

v_add_co_ci_u32 v5, vcc, ttmp15, v2, vcc
// W32-ERR: :[[@LINE-1]]:1: error: operands are not valid for this GPU or mode
// W64: v_add_co_ci_u32_e32 v5, vcc, ttmp15, v2, vcc ; encoding: [0x7b,0x04,0x0a,0x40]

v_add_co_ci_u32 v5, vcc, v1, v2, vcc
// W32-ERR: :[[@LINE-1]]:1: error: operands are not valid for this GPU or mode
// W64: v_add_co_ci_u32_e32 v5, vcc, v1, v2, vcc ; encoding: [0x01,0x05,0x0a,0x40]

v_add_co_ci_u32 v5, vcc, v255, v2, vcc
// W32-ERR: :[[@LINE-1]]:1: error: operands are not valid for this GPU or mode
// W64: v_add_co_ci_u32_e32 v5, vcc, v255, v2, vcc ; encoding: [0xff,0x05,0x0a,0x40]

v_add_co_ci_u32 v5, vcc, vcc_hi, v2, vcc
// W32-ERR: :[[@LINE-1]]:1: error: operands are not valid for this GPU or mode
// W64: v_add_co_ci_u32_e32 v5, vcc, vcc_hi, v2, vcc ; encoding: [0x6b,0x04,0x0a,0x40]

v_add_co_ci_u32 v5, vcc, vcc_lo, v2, vcc
// W32-ERR: :[[@LINE-1]]:1: error: operands are not valid for this GPU or mode
// W64: v_add_co_ci_u32_e32 v5, vcc, vcc_lo, v2, vcc ; encoding: [0x6a,0x04,0x0a,0x40]

v_add_co_ci_u32 v5, vcc_lo, -1, v2, vcc_lo
// W32: v_add_co_ci_u32_e32 v5, vcc_lo, -1, v2, vcc_lo ; encoding: [0xc1,0x04,0x0a,0x40]
// W64-ERR: :[[@LINE-2]]:1: error: operands are not valid for this GPU or mode

v_add_co_ci_u32 v5, vcc_lo, 0.5, v2, vcc_lo
// W32: v_add_co_ci_u32_e32 v5, vcc_lo, 0.5, v2, vcc_lo ; encoding: [0xf0,0x04,0x0a,0x40]
// W64-ERR: :[[@LINE-2]]:1: error: operands are not valid for this GPU or mode

v_add_co_ci_u32 v5, vcc_lo, exec_hi, v2, vcc_lo
// W32: v_add_co_ci_u32_e32 v5, vcc_lo, exec_hi, v2, vcc_lo ; encoding: [0x7f,0x04,0x0a,0x40]
// W64-ERR: :[[@LINE-2]]:1: error: operands are not valid for this GPU or mode

v_add_co_ci_u32 v5, vcc_lo, exec_lo, v2, vcc_lo
// W32: v_add_co_ci_u32_e32 v5, vcc_lo, exec_lo, v2, vcc_lo ; encoding: [0x7e,0x04,0x0a,0x40]
// W64-ERR: :[[@LINE-2]]:1: error: operands are not valid for this GPU or mode

v_add_co_ci_u32 v5, vcc_lo, m0, v2, vcc_lo
// W32: v_add_co_ci_u32_e32 v5, vcc_lo, m0, v2, vcc_lo ; encoding: [0x7d,0x04,0x0a,0x40]
// W64-ERR: :[[@LINE-2]]:1: error: operands are not valid for this GPU or mode

v_add_co_ci_u32 v5, vcc_lo, null, v2, vcc_lo
// W32: v_add_co_ci_u32_e32 v5, vcc_lo, null, v2, vcc_lo ; encoding: [0x7c,0x04,0x0a,0x40]
// W64-ERR: :[[@LINE-2]]:1: error: operands are not valid for this GPU or mode

v_add_co_ci_u32 v5, vcc_lo, s1, v2, vcc_lo
// W32: v_add_co_ci_u32_e32 v5, vcc_lo, s1, v2, vcc_lo ; encoding: [0x01,0x04,0x0a,0x40]
// W64-ERR: :[[@LINE-2]]:1: error: operands are not valid for this GPU or mode

v_add_co_ci_u32 v5, vcc_lo, s105, v2, vcc_lo
// W32: v_add_co_ci_u32_e32 v5, vcc_lo, s105, v2, vcc_lo ; encoding: [0x69,0x04,0x0a,0x40]
// W64-ERR: :[[@LINE-2]]:1: error: operands are not valid for this GPU or mode

v_add_co_ci_u32 v5, vcc_lo, src_scc, v2, vcc_lo
// W32: v_add_co_ci_u32_e32 v5, vcc_lo, src_scc, v2, vcc_lo ; encoding: [0xfd,0x04,0x0a,0x40]
// W64-ERR: :[[@LINE-2]]:1: error: operands are not valid for this GPU or mode

v_add_co_ci_u32 v5, vcc_lo, ttmp15, v2, vcc_lo
// W32: v_add_co_ci_u32_e32 v5, vcc_lo, ttmp15, v2, vcc_lo ; encoding: [0x7b,0x04,0x0a,0x40]
// W64-ERR: :[[@LINE-2]]:1: error: operands are not valid for this GPU or mode

v_add_co_ci_u32 v5, vcc_lo, v255, v2, vcc_lo
// W32: v_add_co_ci_u32_e32 v5, vcc_lo, v255, v2, vcc_lo ; encoding: [0xff,0x05,0x0a,0x40]
// W64-ERR: :[[@LINE-2]]:1: error: operands are not valid for this GPU or mode

v_add_co_ci_u32 v5, vcc_lo, vcc_hi, v2, vcc_lo
// W32: v_add_co_ci_u32_e32 v5, vcc_lo, vcc_hi, v2, vcc_lo ; encoding: [0x6b,0x04,0x0a,0x40]
// W64-ERR: :[[@LINE-2]]:1: error: operands are not valid for this GPU or mode

v_add_co_ci_u32 v5, vcc_lo, vcc_lo, v2, vcc_lo
// W32: v_add_co_ci_u32_e32 v5, vcc_lo, vcc_lo, v2, vcc_lo ; encoding: [0x6a,0x04,0x0a,0x40]
// W64-ERR: :[[@LINE-2]]:1: error: operands are not valid for this GPU or mode

v_add_co_ci_u32_e32 v5, vcc_lo, v1, v2, vcc_lo
// W32: v_add_co_ci_u32_e32 v5, vcc_lo, v1, v2, vcc_lo ; encoding: [0x01,0x05,0x0a,0x40]
// W64-ERR: :[[@LINE-2]]:1: error: operands are not valid for this GPU or mode

v_add_f16 v127, 0xfe0b, v127
// GFX12: v_add_f16_e32 v127, 0xfe0b, v127        ; encoding: [0xff,0xfe,0xfe,0x64,0x0b,0xfe,0x00,0x00]

v_add_f16 v5, -1, v2
// GFX12: v_add_f16_e32 v5, -1, v2                ; encoding: [0xc1,0x04,0x0a,0x64]

v_add_f16 v5, 0.5, v2
// GFX12: v_add_f16_e32 v5, 0.5, v2               ; encoding: [0xf0,0x04,0x0a,0x64]

v_add_f16 v5, exec_hi, v2
// GFX12: v_add_f16_e32 v5, exec_hi, v2           ; encoding: [0x7f,0x04,0x0a,0x64]

v_add_f16 v5, exec_lo, v2
// GFX12: v_add_f16_e32 v5, exec_lo, v2           ; encoding: [0x7e,0x04,0x0a,0x64]

v_add_f16 v5, m0, v2
// GFX12: v_add_f16_e32 v5, m0, v2                ; encoding: [0x7d,0x04,0x0a,0x64]

v_add_f16 v5, null, v2
// GFX12: v_add_f16_e32 v5, null, v2              ; encoding: [0x7c,0x04,0x0a,0x64]

v_add_f16 v5, s1, v2
// GFX12: v_add_f16_e32 v5, s1, v2                ; encoding: [0x01,0x04,0x0a,0x64]

v_add_f16 v5, s105, v2
// GFX12: v_add_f16_e32 v5, s105, v2              ; encoding: [0x69,0x04,0x0a,0x64]

v_add_f16 v5, src_scc, v2
// GFX12: v_add_f16_e32 v5, src_scc, v2           ; encoding: [0xfd,0x04,0x0a,0x64]

v_add_f16 v5, ttmp15, v2
// GFX12: v_add_f16_e32 v5, ttmp15, v2            ; encoding: [0x7b,0x04,0x0a,0x64]

v_add_f16 v5, v1, v2
// GFX12: v_add_f16_e32 v5, v1, v2                ; encoding: [0x01,0x05,0x0a,0x64]

v_add_f16 v5, v127, v2
// GFX12: v_add_f16_e32 v5, v127, v2              ; encoding: [0x7f,0x05,0x0a,0x64]

v_add_f16 v5, vcc_hi, v2
// GFX12: v_add_f16_e32 v5, vcc_hi, v2            ; encoding: [0x6b,0x04,0x0a,0x64]

v_add_f16 v5, vcc_lo, v2
// GFX12: v_add_f16_e32 v5, vcc_lo, v2            ; encoding: [0x6a,0x04,0x0a,0x64]

v_add_f32 v255, 0xaf123456, v255
// GFX12: v_add_f32_e32 v255, 0xaf123456, v255    ; encoding: [0xff,0xfe,0xff,0x07,0x56,0x34,0x12,0xaf]

v_add_f32 v5, -1, v2
// GFX12: v_add_f32_e32 v5, -1, v2                ; encoding: [0xc1,0x04,0x0a,0x06]

v_add_f32 v5, 0.5, v2
// GFX12: v_add_f32_e32 v5, 0.5, v2               ; encoding: [0xf0,0x04,0x0a,0x06]

v_add_f32 v5, exec_hi, v2
// GFX12: v_add_f32_e32 v5, exec_hi, v2           ; encoding: [0x7f,0x04,0x0a,0x06]

v_add_f32 v5, exec_lo, v2
// GFX12: v_add_f32_e32 v5, exec_lo, v2           ; encoding: [0x7e,0x04,0x0a,0x06]

v_add_f32 v5, m0, v2
// GFX12: v_add_f32_e32 v5, m0, v2                ; encoding: [0x7d,0x04,0x0a,0x06]

v_add_f32 v5, null, v2
// GFX12: v_add_f32_e32 v5, null, v2              ; encoding: [0x7c,0x04,0x0a,0x06]

v_add_f32 v5, s1, v2
// GFX12: v_add_f32_e32 v5, s1, v2                ; encoding: [0x01,0x04,0x0a,0x06]

v_add_f32 v5, s105, v2
// GFX12: v_add_f32_e32 v5, s105, v2              ; encoding: [0x69,0x04,0x0a,0x06]

v_add_f32 v5, src_scc, v2
// GFX12: v_add_f32_e32 v5, src_scc, v2           ; encoding: [0xfd,0x04,0x0a,0x06]

v_add_f32 v5, ttmp15, v2
// GFX12: v_add_f32_e32 v5, ttmp15, v2            ; encoding: [0x7b,0x04,0x0a,0x06]

v_add_f32 v5, v1, v2
// GFX12: v_add_f32_e32 v5, v1, v2                ; encoding: [0x01,0x05,0x0a,0x06]

v_add_f32 v5, v255, v2
// GFX12: v_add_f32_e32 v5, v255, v2              ; encoding: [0xff,0x05,0x0a,0x06]

v_add_f32 v5, vcc_hi, v2
// GFX12: v_add_f32_e32 v5, vcc_hi, v2            ; encoding: [0x6b,0x04,0x0a,0x06]

v_add_f32 v5, vcc_lo, v2
// GFX12: v_add_f32_e32 v5, vcc_lo, v2            ; encoding: [0x6a,0x04,0x0a,0x06]

v_add_f64 v[254:255], 0xaf123456, v[254:255]
// GFX12: v_add_f64_e32 v[254:255], 0xaf123456, v[254:255] ; encoding: [0xff,0xfc,0xfd,0x05,0x56,0x34,0x12,0xaf]

v_add_f64 v[5:6], -1, v[2:3]
// GFX12: v_add_f64_e32 v[5:6], -1, v[2:3]        ; encoding: [0xc1,0x04,0x0a,0x04]

v_add_f64 v[5:6], 0.5, v[2:3]
// GFX12: v_add_f64_e32 v[5:6], 0.5, v[2:3]       ; encoding: [0xf0,0x04,0x0a,0x04]

v_add_f64 v[5:6], exec, v[2:3]
// GFX12: v_add_f64_e32 v[5:6], exec, v[2:3]      ; encoding: [0x7e,0x04,0x0a,0x04]

v_add_f64 v[5:6], null, v[2:3]
// GFX12: v_add_f64_e32 v[5:6], null, v[2:3]      ; encoding: [0x7c,0x04,0x0a,0x04]

v_add_f64 v[5:6], s[0:1], v[2:3]
// GFX12: v_add_f64_e32 v[5:6], s[0:1], v[2:3]    ; encoding: [0x00,0x04,0x0a,0x04]

v_add_f64 v[5:6], s[104:105], v[2:3]
// GFX12: v_add_f64_e32 v[5:6], s[104:105], v[2:3] ; encoding: [0x68,0x04,0x0a,0x04]

v_add_f64 v[5:6], src_scc, v[2:3]
// GFX12: v_add_f64_e32 v[5:6], src_scc, v[2:3]   ; encoding: [0xfd,0x04,0x0a,0x04]

v_add_f64 v[5:6], ttmp[14:15], v[2:3]
// GFX12: v_add_f64_e32 v[5:6], ttmp[14:15], v[2:3] ; encoding: [0x7a,0x04,0x0a,0x04]

v_add_f64 v[5:6], v[1:2], v[3:4]
// GFX12: v_add_f64_e32 v[5:6], v[1:2], v[3:4]    ; encoding: [0x01,0x07,0x0a,0x04]

v_add_f64 v[5:6], v[254:255], v[2:3]
// GFX12: v_add_f64_e32 v[5:6], v[254:255], v[2:3] ; encoding: [0xfe,0x05,0x0a,0x04]

v_add_f64 v[5:6], vcc, v[2:3]
// GFX12: v_add_f64_e32 v[5:6], vcc, v[2:3]       ; encoding: [0x6a,0x04,0x0a,0x04]

v_add_nc_u32 v255, 0xaf123456, v255
// GFX12: v_add_nc_u32_e32 v255, 0xaf123456, v255 ; encoding: [0xff,0xfe,0xff,0x4b,0x56,0x34,0x12,0xaf]

v_add_nc_u32 v5, -1, v2
// GFX12: v_add_nc_u32_e32 v5, -1, v2             ; encoding: [0xc1,0x04,0x0a,0x4a]

v_add_nc_u32 v5, 0.5, v2
// GFX12: v_add_nc_u32_e32 v5, 0.5, v2            ; encoding: [0xf0,0x04,0x0a,0x4a]

v_add_nc_u32 v5, exec_hi, v2
// GFX12: v_add_nc_u32_e32 v5, exec_hi, v2        ; encoding: [0x7f,0x04,0x0a,0x4a]

v_add_nc_u32 v5, exec_lo, v2
// GFX12: v_add_nc_u32_e32 v5, exec_lo, v2        ; encoding: [0x7e,0x04,0x0a,0x4a]

v_add_nc_u32 v5, m0, v2
// GFX12: v_add_nc_u32_e32 v5, m0, v2             ; encoding: [0x7d,0x04,0x0a,0x4a]

v_add_nc_u32 v5, null, v2
// GFX12: v_add_nc_u32_e32 v5, null, v2           ; encoding: [0x7c,0x04,0x0a,0x4a]

v_add_nc_u32 v5, s1, v2
// GFX12: v_add_nc_u32_e32 v5, s1, v2             ; encoding: [0x01,0x04,0x0a,0x4a]

v_add_nc_u32 v5, s105, v2
// GFX12: v_add_nc_u32_e32 v5, s105, v2           ; encoding: [0x69,0x04,0x0a,0x4a]

v_add_nc_u32 v5, src_scc, v2
// GFX12: v_add_nc_u32_e32 v5, src_scc, v2        ; encoding: [0xfd,0x04,0x0a,0x4a]

v_add_nc_u32 v5, ttmp15, v2
// GFX12: v_add_nc_u32_e32 v5, ttmp15, v2         ; encoding: [0x7b,0x04,0x0a,0x4a]

v_add_nc_u32 v5, v1, v2
// GFX12: v_add_nc_u32_e32 v5, v1, v2             ; encoding: [0x01,0x05,0x0a,0x4a]

v_add_nc_u32 v5, v255, v2
// GFX12: v_add_nc_u32_e32 v5, v255, v2           ; encoding: [0xff,0x05,0x0a,0x4a]

v_add_nc_u32 v5, vcc_hi, v2
// GFX12: v_add_nc_u32_e32 v5, vcc_hi, v2         ; encoding: [0x6b,0x04,0x0a,0x4a]

v_add_nc_u32 v5, vcc_lo, v2
// GFX12: v_add_nc_u32_e32 v5, vcc_lo, v2         ; encoding: [0x6a,0x04,0x0a,0x4a]

v_and_b32 v255, 0xaf123456, v255
// GFX12: v_and_b32_e32 v255, 0xaf123456, v255    ; encoding: [0xff,0xfe,0xff,0x37,0x56,0x34,0x12,0xaf]

v_and_b32 v5, -1, v2
// GFX12: v_and_b32_e32 v5, -1, v2                ; encoding: [0xc1,0x04,0x0a,0x36]

v_and_b32 v5, 0.5, v2
// GFX12: v_and_b32_e32 v5, 0.5, v2               ; encoding: [0xf0,0x04,0x0a,0x36]

v_and_b32 v5, exec_hi, v2
// GFX12: v_and_b32_e32 v5, exec_hi, v2           ; encoding: [0x7f,0x04,0x0a,0x36]

v_and_b32 v5, exec_lo, v2
// GFX12: v_and_b32_e32 v5, exec_lo, v2           ; encoding: [0x7e,0x04,0x0a,0x36]

v_and_b32 v5, m0, v2
// GFX12: v_and_b32_e32 v5, m0, v2                ; encoding: [0x7d,0x04,0x0a,0x36]

v_and_b32 v5, null, v2
// GFX12: v_and_b32_e32 v5, null, v2              ; encoding: [0x7c,0x04,0x0a,0x36]

v_and_b32 v5, s1, v2
// GFX12: v_and_b32_e32 v5, s1, v2                ; encoding: [0x01,0x04,0x0a,0x36]

v_and_b32 v5, s105, v2
// GFX12: v_and_b32_e32 v5, s105, v2              ; encoding: [0x69,0x04,0x0a,0x36]

v_and_b32 v5, src_scc, v2
// GFX12: v_and_b32_e32 v5, src_scc, v2           ; encoding: [0xfd,0x04,0x0a,0x36]

v_and_b32 v5, ttmp15, v2
// GFX12: v_and_b32_e32 v5, ttmp15, v2            ; encoding: [0x7b,0x04,0x0a,0x36]

v_and_b32 v5, v1, v2
// GFX12: v_and_b32_e32 v5, v1, v2                ; encoding: [0x01,0x05,0x0a,0x36]

v_and_b32 v5, v255, v2
// GFX12: v_and_b32_e32 v5, v255, v2              ; encoding: [0xff,0x05,0x0a,0x36]

v_and_b32 v5, vcc_hi, v2
// GFX12: v_and_b32_e32 v5, vcc_hi, v2            ; encoding: [0x6b,0x04,0x0a,0x36]

v_and_b32 v5, vcc_lo, v2
// GFX12: v_and_b32_e32 v5, vcc_lo, v2            ; encoding: [0x6a,0x04,0x0a,0x36]

v_ashrrev_i32 v255, 0xaf123456, v255
// GFX12: v_ashrrev_i32_e32 v255, 0xaf123456, v255 ; encoding: [0xff,0xfe,0xff,0x35,0x56,0x34,0x12,0xaf]

v_ashrrev_i32 v5, -1, v2
// GFX12: v_ashrrev_i32_e32 v5, -1, v2            ; encoding: [0xc1,0x04,0x0a,0x34]

v_ashrrev_i32 v5, 0.5, v2
// GFX12: v_ashrrev_i32_e32 v5, 0.5, v2           ; encoding: [0xf0,0x04,0x0a,0x34]

v_ashrrev_i32 v5, exec_hi, v2
// GFX12: v_ashrrev_i32_e32 v5, exec_hi, v2       ; encoding: [0x7f,0x04,0x0a,0x34]

v_ashrrev_i32 v5, exec_lo, v2
// GFX12: v_ashrrev_i32_e32 v5, exec_lo, v2       ; encoding: [0x7e,0x04,0x0a,0x34]

v_ashrrev_i32 v5, m0, v2
// GFX12: v_ashrrev_i32_e32 v5, m0, v2            ; encoding: [0x7d,0x04,0x0a,0x34]

v_ashrrev_i32 v5, null, v2
// GFX12: v_ashrrev_i32_e32 v5, null, v2          ; encoding: [0x7c,0x04,0x0a,0x34]

v_ashrrev_i32 v5, s1, v2
// GFX12: v_ashrrev_i32_e32 v5, s1, v2            ; encoding: [0x01,0x04,0x0a,0x34]

v_ashrrev_i32 v5, s105, v2
// GFX12: v_ashrrev_i32_e32 v5, s105, v2          ; encoding: [0x69,0x04,0x0a,0x34]

v_ashrrev_i32 v5, src_scc, v2
// GFX12: v_ashrrev_i32_e32 v5, src_scc, v2       ; encoding: [0xfd,0x04,0x0a,0x34]

v_ashrrev_i32 v5, ttmp15, v2
// GFX12: v_ashrrev_i32_e32 v5, ttmp15, v2        ; encoding: [0x7b,0x04,0x0a,0x34]

v_ashrrev_i32 v5, v1, v2
// GFX12: v_ashrrev_i32_e32 v5, v1, v2            ; encoding: [0x01,0x05,0x0a,0x34]

v_ashrrev_i32 v5, v255, v2
// GFX12: v_ashrrev_i32_e32 v5, v255, v2          ; encoding: [0xff,0x05,0x0a,0x34]

v_ashrrev_i32 v5, vcc_hi, v2
// GFX12: v_ashrrev_i32_e32 v5, vcc_hi, v2        ; encoding: [0x6b,0x04,0x0a,0x34]

v_ashrrev_i32 v5, vcc_lo, v2
// GFX12: v_ashrrev_i32_e32 v5, vcc_lo, v2        ; encoding: [0x6a,0x04,0x0a,0x34]

v_cndmask_b32 v255, 0xaf123456, v255, vcc
// W32-ERR: :[[@LINE-1]]:1: error: operands are not valid for this GPU or mode
// W64: v_cndmask_b32_e32 v255, 0xaf123456, v255, vcc ; encoding: [0xff,0xfe,0xff,0x03,0x56,0x34,0x12,0xaf]

v_cndmask_b32 v255, 0xaf123456, v255, vcc_lo
// W32: v_cndmask_b32_e32 v255, 0xaf123456, v255, vcc_lo ; encoding: [0xff,0xfe,0xff,0x03,0x56,0x34,0x12,0xaf]
// W64-ERR: :[[@LINE-2]]:1: error: operands are not valid for this GPU or mode

v_cndmask_b32 v5, -1, v2, vcc
// W32-ERR: :[[@LINE-1]]:1: error: operands are not valid for this GPU or mode
// W64: v_cndmask_b32_e32 v5, -1, v2, vcc       ; encoding: [0xc1,0x04,0x0a,0x02]

v_cndmask_b32 v5, -1, v2, vcc_lo
// W32: v_cndmask_b32_e32 v5, -1, v2, vcc_lo    ; encoding: [0xc1,0x04,0x0a,0x02]
// W64-ERR: :[[@LINE-2]]:1: error: operands are not valid for this GPU or mode

v_cndmask_b32 v5, 0.5, v2, vcc
// W32-ERR: :[[@LINE-1]]:1: error: operands are not valid for this GPU or mode
// W64: v_cndmask_b32_e32 v5, 0.5, v2, vcc      ; encoding: [0xf0,0x04,0x0a,0x02]

v_cndmask_b32 v5, 0.5, v2, vcc_lo
// W32: v_cndmask_b32_e32 v5, 0.5, v2, vcc_lo   ; encoding: [0xf0,0x04,0x0a,0x02]
// W64-ERR: :[[@LINE-2]]:1: error: operands are not valid for this GPU or mode

v_cndmask_b32 v5, exec_hi, v2, vcc
// W32-ERR: :[[@LINE-1]]:1: error: operands are not valid for this GPU or mode
// W64: v_cndmask_b32_e32 v5, exec_hi, v2, vcc  ; encoding: [0x7f,0x04,0x0a,0x02]

v_cndmask_b32 v5, exec_hi, v2, vcc_lo
// W32: v_cndmask_b32_e32 v5, exec_hi, v2, vcc_lo ; encoding: [0x7f,0x04,0x0a,0x02]
// W64-ERR: :[[@LINE-2]]:1: error: operands are not valid for this GPU or mode

v_cndmask_b32 v5, exec_lo, v2, vcc
// W32-ERR: :[[@LINE-1]]:1: error: operands are not valid for this GPU or mode
// W64: v_cndmask_b32_e32 v5, exec_lo, v2, vcc  ; encoding: [0x7e,0x04,0x0a,0x02]

v_cndmask_b32 v5, exec_lo, v2, vcc_lo
// W32: v_cndmask_b32_e32 v5, exec_lo, v2, vcc_lo ; encoding: [0x7e,0x04,0x0a,0x02]
// W64-ERR: :[[@LINE-2]]:1: error: operands are not valid for this GPU or mode

v_cndmask_b32 v5, m0, v2, vcc
// W32-ERR: :[[@LINE-1]]:1: error: operands are not valid for this GPU or mode
// W64: v_cndmask_b32_e32 v5, m0, v2, vcc       ; encoding: [0x7d,0x04,0x0a,0x02]

v_cndmask_b32 v5, m0, v2, vcc_lo
// W32: v_cndmask_b32_e32 v5, m0, v2, vcc_lo    ; encoding: [0x7d,0x04,0x0a,0x02]
// W64-ERR: :[[@LINE-2]]:1: error: operands are not valid for this GPU or mode

v_cndmask_b32 v5, null, v2, vcc
// W32-ERR: :[[@LINE-1]]:1: error: operands are not valid for this GPU or mode
// W64: v_cndmask_b32_e32 v5, null, v2, vcc     ; encoding: [0x7c,0x04,0x0a,0x02]

v_cndmask_b32 v5, null, v2, vcc_lo
// W32: v_cndmask_b32_e32 v5, null, v2, vcc_lo  ; encoding: [0x7c,0x04,0x0a,0x02]
// W64-ERR: :[[@LINE-2]]:1: error: operands are not valid for this GPU or mode

v_cndmask_b32 v5, s1, v2, vcc
// W32-ERR: :[[@LINE-1]]:1: error: operands are not valid for this GPU or mode
// W64: v_cndmask_b32_e32 v5, s1, v2, vcc       ; encoding: [0x01,0x04,0x0a,0x02]

v_cndmask_b32 v5, s1, v2, vcc_lo
// W32: v_cndmask_b32_e32 v5, s1, v2, vcc_lo    ; encoding: [0x01,0x04,0x0a,0x02]
// W64-ERR: :[[@LINE-2]]:1: error: operands are not valid for this GPU or mode

v_cndmask_b32 v5, s105, v2, vcc
// W32-ERR: :[[@LINE-1]]:1: error: operands are not valid for this GPU or mode
// W64: v_cndmask_b32_e32 v5, s105, v2, vcc     ; encoding: [0x69,0x04,0x0a,0x02]

v_cndmask_b32 v5, s105, v2, vcc_lo
// W32: v_cndmask_b32_e32 v5, s105, v2, vcc_lo  ; encoding: [0x69,0x04,0x0a,0x02]
// W64-ERR: :[[@LINE-2]]:1: error: operands are not valid for this GPU or mode

v_cndmask_b32 v5, src_scc, v2, vcc
// W32-ERR: :[[@LINE-1]]:1: error: operands are not valid for this GPU or mode
// W64: v_cndmask_b32_e32 v5, src_scc, v2, vcc  ; encoding: [0xfd,0x04,0x0a,0x02]

v_cndmask_b32 v5, src_scc, v2, vcc_lo
// W32: v_cndmask_b32_e32 v5, src_scc, v2, vcc_lo ; encoding: [0xfd,0x04,0x0a,0x02]
// W64-ERR: :[[@LINE-2]]:1: error: operands are not valid for this GPU or mode

v_cndmask_b32 v5, ttmp15, v2, vcc
// W32-ERR: :[[@LINE-1]]:1: error: operands are not valid for this GPU or mode
// W64: v_cndmask_b32_e32 v5, ttmp15, v2, vcc   ; encoding: [0x7b,0x04,0x0a,0x02]

v_cndmask_b32 v5, ttmp15, v2, vcc_lo
// W32: v_cndmask_b32_e32 v5, ttmp15, v2, vcc_lo ; encoding: [0x7b,0x04,0x0a,0x02]
// W64-ERR: :[[@LINE-2]]:1: error: operands are not valid for this GPU or mode

v_cndmask_b32 v5, v1, v2, vcc
// W32-ERR: :[[@LINE-1]]:1: error: operands are not valid for this GPU or mode
// W64: v_cndmask_b32_e32 v5, v1, v2, vcc       ; encoding: [0x01,0x05,0x0a,0x02]

v_cndmask_b32 v5, v1, v2, vcc_lo
// W32: v_cndmask_b32_e32 v5, v1, v2, vcc_lo    ; encoding: [0x01,0x05,0x0a,0x02]
// W64-ERR: :[[@LINE-2]]:1: error: operands are not valid for this GPU or mode

v_cndmask_b32 v5, v255, v2, vcc
// W32-ERR: :[[@LINE-1]]:1: error: operands are not valid for this GPU or mode
// W64: v_cndmask_b32_e32 v5, v255, v2, vcc     ; encoding: [0xff,0x05,0x0a,0x02]

v_cndmask_b32 v5, v255, v2, vcc_lo
// W32: v_cndmask_b32_e32 v5, v255, v2, vcc_lo  ; encoding: [0xff,0x05,0x0a,0x02]
// W64-ERR: :[[@LINE-2]]:1: error: operands are not valid for this GPU or mode

v_cndmask_b32 v5, vcc_hi, v2, vcc
// W32-ERR: :[[@LINE-1]]:1: error: operands are not valid for this GPU or mode
// W64: v_cndmask_b32_e32 v5, vcc_hi, v2, vcc   ; encoding: [0x6b,0x04,0x0a,0x02]

v_cndmask_b32 v5, vcc_hi, v2, vcc_lo
// W32: v_cndmask_b32_e32 v5, vcc_hi, v2, vcc_lo ; encoding: [0x6b,0x04,0x0a,0x02]
// W64-ERR: :[[@LINE-2]]:1: error: operands are not valid for this GPU or mode

v_cndmask_b32 v5, vcc_lo, v2, vcc
// W32-ERR: :[[@LINE-1]]:1: error: operands are not valid for this GPU or mode
// W64: v_cndmask_b32_e32 v5, vcc_lo, v2, vcc   ; encoding: [0x6a,0x04,0x0a,0x02]

v_cndmask_b32 v5, vcc_lo, v2, vcc_lo
// W32: v_cndmask_b32_e32 v5, vcc_lo, v2, vcc_lo ; encoding: [0x6a,0x04,0x0a,0x02]
// W64-ERR: :[[@LINE-2]]:1: error: operands are not valid for this GPU or mode

v_cvt_pk_rtz_f16_f32 v255, 0xaf123456, v255
// GFX12: v_cvt_pk_rtz_f16_f32_e32 v255, 0xaf123456, v255 ; encoding: [0xff,0xfe,0xff,0x5f,0x56,0x34,0x12,0xaf]

v_cvt_pk_rtz_f16_f32 v5, -1, v2
// GFX12: v_cvt_pk_rtz_f16_f32_e32 v5, -1, v2     ; encoding: [0xc1,0x04,0x0a,0x5e]

v_cvt_pk_rtz_f16_f32 v5, 0.5, v2
// GFX12: v_cvt_pk_rtz_f16_f32_e32 v5, 0.5, v2    ; encoding: [0xf0,0x04,0x0a,0x5e]

v_cvt_pk_rtz_f16_f32 v5, exec_hi, v2
// GFX12: v_cvt_pk_rtz_f16_f32_e32 v5, exec_hi, v2 ; encoding: [0x7f,0x04,0x0a,0x5e]

v_cvt_pk_rtz_f16_f32 v5, exec_lo, v2
// GFX12: v_cvt_pk_rtz_f16_f32_e32 v5, exec_lo, v2 ; encoding: [0x7e,0x04,0x0a,0x5e]

v_cvt_pk_rtz_f16_f32 v5, m0, v2
// GFX12: v_cvt_pk_rtz_f16_f32_e32 v5, m0, v2     ; encoding: [0x7d,0x04,0x0a,0x5e]

v_cvt_pk_rtz_f16_f32 v5, null, v2
// GFX12: v_cvt_pk_rtz_f16_f32_e32 v5, null, v2   ; encoding: [0x7c,0x04,0x0a,0x5e]

v_cvt_pk_rtz_f16_f32 v5, s1, v2
// GFX12: v_cvt_pk_rtz_f16_f32_e32 v5, s1, v2     ; encoding: [0x01,0x04,0x0a,0x5e]

v_cvt_pk_rtz_f16_f32 v5, s105, v2
// GFX12: v_cvt_pk_rtz_f16_f32_e32 v5, s105, v2   ; encoding: [0x69,0x04,0x0a,0x5e]

v_cvt_pk_rtz_f16_f32 v5, src_scc, v2
// GFX12: v_cvt_pk_rtz_f16_f32_e32 v5, src_scc, v2 ; encoding: [0xfd,0x04,0x0a,0x5e]

v_cvt_pk_rtz_f16_f32 v5, ttmp15, v2
// GFX12: v_cvt_pk_rtz_f16_f32_e32 v5, ttmp15, v2 ; encoding: [0x7b,0x04,0x0a,0x5e]

v_cvt_pk_rtz_f16_f32 v5, v1, v2
// GFX12: v_cvt_pk_rtz_f16_f32_e32 v5, v1, v2     ; encoding: [0x01,0x05,0x0a,0x5e]

v_cvt_pk_rtz_f16_f32 v5, v255, v2
// GFX12: v_cvt_pk_rtz_f16_f32_e32 v5, v255, v2   ; encoding: [0xff,0x05,0x0a,0x5e]

v_cvt_pk_rtz_f16_f32 v5, vcc_hi, v2
// GFX12: v_cvt_pk_rtz_f16_f32_e32 v5, vcc_hi, v2 ; encoding: [0x6b,0x04,0x0a,0x5e]

v_cvt_pk_rtz_f16_f32 v5, vcc_lo, v2
// GFX12: v_cvt_pk_rtz_f16_f32_e32 v5, vcc_lo, v2 ; encoding: [0x6a,0x04,0x0a,0x5e]

v_cvt_pkrtz_f16_f32 v255, 0xaf123456, v255
// GFX12: v_cvt_pk_rtz_f16_f32_e32 v255, 0xaf123456, v255 ; encoding: [0xff,0xfe,0xff,0x5f,0x56,0x34,0x12,0xaf]

v_cvt_pkrtz_f16_f32 v5, -1, v2
// GFX12: v_cvt_pk_rtz_f16_f32_e32 v5, -1, v2     ; encoding: [0xc1,0x04,0x0a,0x5e]

v_cvt_pkrtz_f16_f32 v5, 0.5, v2
// GFX12: v_cvt_pk_rtz_f16_f32_e32 v5, 0.5, v2    ; encoding: [0xf0,0x04,0x0a,0x5e]

v_cvt_pkrtz_f16_f32 v5, exec_hi, v2
// GFX12: v_cvt_pk_rtz_f16_f32_e32 v5, exec_hi, v2 ; encoding: [0x7f,0x04,0x0a,0x5e]

v_cvt_pkrtz_f16_f32 v5, exec_lo, v2
// GFX12: v_cvt_pk_rtz_f16_f32_e32 v5, exec_lo, v2 ; encoding: [0x7e,0x04,0x0a,0x5e]

v_cvt_pkrtz_f16_f32 v5, m0, v2
// GFX12: v_cvt_pk_rtz_f16_f32_e32 v5, m0, v2     ; encoding: [0x7d,0x04,0x0a,0x5e]

v_cvt_pkrtz_f16_f32 v5, null, v2
// GFX12: v_cvt_pk_rtz_f16_f32_e32 v5, null, v2   ; encoding: [0x7c,0x04,0x0a,0x5e]

v_cvt_pkrtz_f16_f32 v5, s1, v2
// GFX12: v_cvt_pk_rtz_f16_f32_e32 v5, s1, v2     ; encoding: [0x01,0x04,0x0a,0x5e]

v_cvt_pkrtz_f16_f32 v5, s105, v2
// GFX12: v_cvt_pk_rtz_f16_f32_e32 v5, s105, v2   ; encoding: [0x69,0x04,0x0a,0x5e]

v_cvt_pkrtz_f16_f32 v5, src_scc, v2
// GFX12: v_cvt_pk_rtz_f16_f32_e32 v5, src_scc, v2 ; encoding: [0xfd,0x04,0x0a,0x5e]

v_cvt_pkrtz_f16_f32 v5, ttmp15, v2
// GFX12: v_cvt_pk_rtz_f16_f32_e32 v5, ttmp15, v2 ; encoding: [0x7b,0x04,0x0a,0x5e]

v_cvt_pkrtz_f16_f32 v5, v1, v2
// GFX12: v_cvt_pk_rtz_f16_f32_e32 v5, v1, v2     ; encoding: [0x01,0x05,0x0a,0x5e]

v_cvt_pkrtz_f16_f32 v5, v255, v2
// GFX12: v_cvt_pk_rtz_f16_f32_e32 v5, v255, v2   ; encoding: [0xff,0x05,0x0a,0x5e]

v_cvt_pkrtz_f16_f32 v5, vcc_hi, v2
// GFX12: v_cvt_pk_rtz_f16_f32_e32 v5, vcc_hi, v2 ; encoding: [0x6b,0x04,0x0a,0x5e]

v_cvt_pkrtz_f16_f32 v5, vcc_lo, v2
// GFX12: v_cvt_pk_rtz_f16_f32_e32 v5, vcc_lo, v2 ; encoding: [0x6a,0x04,0x0a,0x5e]

v_fmaak_f16 v127, 0xfe0b, v127, 0xfe0b
// GFX12: v_fmaak_f16 v127, 0xfe0b, v127, 0xfe0b  ; encoding: [0xff,0xfe,0xfe,0x70,0x0b,0xfe,0x00,0x00]

v_fmaak_f16 v5, -1, v2, 0xfe0b
// GFX12: v_fmaak_f16 v5, -1, v2, 0xfe0b          ; encoding: [0xc1,0x04,0x0a,0x70,0x0b,0xfe,0x00,0x00]

v_fmaak_f16 v5, 0.5, v2, 0xfe0b
// GFX12: v_fmaak_f16 v5, 0.5, v2, 0xfe0b         ; encoding: [0xf0,0x04,0x0a,0x70,0x0b,0xfe,0x00,0x00]

v_fmaak_f16 v5, exec_hi, v2, 0xfe0b
// GFX12: v_fmaak_f16 v5, exec_hi, v2, 0xfe0b     ; encoding: [0x7f,0x04,0x0a,0x70,0x0b,0xfe,0x00,0x00]

v_fmaak_f16 v5, exec_lo, v2, 0xfe0b
// GFX12: v_fmaak_f16 v5, exec_lo, v2, 0xfe0b     ; encoding: [0x7e,0x04,0x0a,0x70,0x0b,0xfe,0x00,0x00]

v_fmaak_f16 v5, m0, v2, 0xfe0b
// GFX12: v_fmaak_f16 v5, m0, v2, 0xfe0b          ; encoding: [0x7d,0x04,0x0a,0x70,0x0b,0xfe,0x00,0x00]

v_fmaak_f16 v5, null, v2, 0xfe0b
// GFX12: v_fmaak_f16 v5, null, v2, 0xfe0b        ; encoding: [0x7c,0x04,0x0a,0x70,0x0b,0xfe,0x00,0x00]

v_fmaak_f16 v5, s1, v2, 0xfe0b
// GFX12: v_fmaak_f16 v5, s1, v2, 0xfe0b          ; encoding: [0x01,0x04,0x0a,0x70,0x0b,0xfe,0x00,0x00]

v_fmaak_f16 v5, s105, v2, 0xfe0b
// GFX12: v_fmaak_f16 v5, s105, v2, 0xfe0b        ; encoding: [0x69,0x04,0x0a,0x70,0x0b,0xfe,0x00,0x00]

v_fmaak_f16 v5, src_scc, v2, 0xfe0b
// GFX12: v_fmaak_f16 v5, src_scc, v2, 0xfe0b     ; encoding: [0xfd,0x04,0x0a,0x70,0x0b,0xfe,0x00,0x00]

v_fmaak_f16 v5, ttmp15, v2, 0xfe0b
// GFX12: v_fmaak_f16 v5, ttmp15, v2, 0xfe0b      ; encoding: [0x7b,0x04,0x0a,0x70,0x0b,0xfe,0x00,0x00]

v_fmaak_f16 v5, v1, v2, 0xfe0b
// GFX12: v_fmaak_f16 v5, v1, v2, 0xfe0b          ; encoding: [0x01,0x05,0x0a,0x70,0x0b,0xfe,0x00,0x00]

v_fmaak_f16 v5, v127, v2, 0xfe0b
// GFX12: v_fmaak_f16 v5, v127, v2, 0xfe0b        ; encoding: [0x7f,0x05,0x0a,0x70,0x0b,0xfe,0x00,0x00]

v_fmaak_f16 v5, vcc_hi, v2, 0xfe0b
// GFX12: v_fmaak_f16 v5, vcc_hi, v2, 0xfe0b      ; encoding: [0x6b,0x04,0x0a,0x70,0x0b,0xfe,0x00,0x00]

v_fmaak_f16 v5, vcc_lo, v2, 0xfe0b
// GFX12: v_fmaak_f16 v5, vcc_lo, v2, 0xfe0b      ; encoding: [0x6a,0x04,0x0a,0x70,0x0b,0xfe,0x00,0x00]

v_fmaak_f32 v255, 0xaf123456, v255, 0xaf123456
// GFX12: v_fmaak_f32 v255, 0xaf123456, v255, 0xaf123456 ; encoding: [0xff,0xfe,0xff,0x5b,0x56,0x34,0x12,0xaf]

v_fmaak_f32 v5, -1, v2, 0xaf123456
// GFX12: v_fmaak_f32 v5, -1, v2, 0xaf123456      ; encoding: [0xc1,0x04,0x0a,0x5a,0x56,0x34,0x12,0xaf]

v_fmaak_f32 v5, 0.5, v2, 0xaf123456
// GFX12: v_fmaak_f32 v5, 0.5, v2, 0xaf123456     ; encoding: [0xf0,0x04,0x0a,0x5a,0x56,0x34,0x12,0xaf]

v_fmaak_f32 v5, exec_hi, v2, 0xaf123456
// GFX12: v_fmaak_f32 v5, exec_hi, v2, 0xaf123456 ; encoding: [0x7f,0x04,0x0a,0x5a,0x56,0x34,0x12,0xaf]

v_fmaak_f32 v5, exec_lo, v2, 0xaf123456
// GFX12: v_fmaak_f32 v5, exec_lo, v2, 0xaf123456 ; encoding: [0x7e,0x04,0x0a,0x5a,0x56,0x34,0x12,0xaf]

v_fmaak_f32 v5, m0, v2, 0xaf123456
// GFX12: v_fmaak_f32 v5, m0, v2, 0xaf123456      ; encoding: [0x7d,0x04,0x0a,0x5a,0x56,0x34,0x12,0xaf]

v_fmaak_f32 v5, null, v2, 0xaf123456
// GFX12: v_fmaak_f32 v5, null, v2, 0xaf123456    ; encoding: [0x7c,0x04,0x0a,0x5a,0x56,0x34,0x12,0xaf]

v_fmaak_f32 v5, s1, v2, 0xaf123456
// GFX12: v_fmaak_f32 v5, s1, v2, 0xaf123456      ; encoding: [0x01,0x04,0x0a,0x5a,0x56,0x34,0x12,0xaf]

v_fmaak_f32 v5, s105, v2, 0xaf123456
// GFX12: v_fmaak_f32 v5, s105, v2, 0xaf123456    ; encoding: [0x69,0x04,0x0a,0x5a,0x56,0x34,0x12,0xaf]

v_fmaak_f32 v5, src_scc, v2, 0xaf123456
// GFX12: v_fmaak_f32 v5, src_scc, v2, 0xaf123456 ; encoding: [0xfd,0x04,0x0a,0x5a,0x56,0x34,0x12,0xaf]

v_fmaak_f32 v5, ttmp15, v2, 0xaf123456
// GFX12: v_fmaak_f32 v5, ttmp15, v2, 0xaf123456  ; encoding: [0x7b,0x04,0x0a,0x5a,0x56,0x34,0x12,0xaf]

v_fmaak_f32 v5, v1, v2, 0xaf123456
// GFX12: v_fmaak_f32 v5, v1, v2, 0xaf123456      ; encoding: [0x01,0x05,0x0a,0x5a,0x56,0x34,0x12,0xaf]

v_fmaak_f32 v5, v255, v2, 0xaf123456
// GFX12: v_fmaak_f32 v5, v255, v2, 0xaf123456    ; encoding: [0xff,0x05,0x0a,0x5a,0x56,0x34,0x12,0xaf]

v_fmaak_f32 v5, vcc_hi, v2, 0xaf123456
// GFX12: v_fmaak_f32 v5, vcc_hi, v2, 0xaf123456  ; encoding: [0x6b,0x04,0x0a,0x5a,0x56,0x34,0x12,0xaf]

v_fmaak_f32 v5, vcc_lo, v2, 0xaf123456
// GFX12: v_fmaak_f32 v5, vcc_lo, v2, 0xaf123456  ; encoding: [0x6a,0x04,0x0a,0x5a,0x56,0x34,0x12,0xaf]

v_fmac_f16 v127, 0xfe0b, v127
// GFX12: v_fmac_f16_e32 v127, 0xfe0b, v127       ; encoding: [0xff,0xfe,0xfe,0x6c,0x0b,0xfe,0x00,0x00]

v_fmac_f16 v5, -1, v2
// GFX12: v_fmac_f16_e32 v5, -1, v2               ; encoding: [0xc1,0x04,0x0a,0x6c]

v_fmac_f16 v5, 0.5, v2
// GFX12: v_fmac_f16_e32 v5, 0.5, v2              ; encoding: [0xf0,0x04,0x0a,0x6c]

v_fmac_f16 v5, exec_hi, v2
// GFX12: v_fmac_f16_e32 v5, exec_hi, v2          ; encoding: [0x7f,0x04,0x0a,0x6c]

v_fmac_f16 v5, exec_lo, v2
// GFX12: v_fmac_f16_e32 v5, exec_lo, v2          ; encoding: [0x7e,0x04,0x0a,0x6c]

v_fmac_f16 v5, m0, v2
// GFX12: v_fmac_f16_e32 v5, m0, v2               ; encoding: [0x7d,0x04,0x0a,0x6c]

v_fmac_f16 v5, null, v2
// GFX12: v_fmac_f16_e32 v5, null, v2             ; encoding: [0x7c,0x04,0x0a,0x6c]

v_fmac_f16 v5, s1, v2
// GFX12: v_fmac_f16_e32 v5, s1, v2               ; encoding: [0x01,0x04,0x0a,0x6c]

v_fmac_f16 v5, s105, v2
// GFX12: v_fmac_f16_e32 v5, s105, v2             ; encoding: [0x69,0x04,0x0a,0x6c]

v_fmac_f16 v5, src_scc, v2
// GFX12: v_fmac_f16_e32 v5, src_scc, v2          ; encoding: [0xfd,0x04,0x0a,0x6c]

v_fmac_f16 v5, ttmp15, v2
// GFX12: v_fmac_f16_e32 v5, ttmp15, v2           ; encoding: [0x7b,0x04,0x0a,0x6c]

v_fmac_f16 v5, v1, v2
// GFX12: v_fmac_f16_e32 v5, v1, v2               ; encoding: [0x01,0x05,0x0a,0x6c]

v_fmac_f16 v5, v127, v2
// GFX12: v_fmac_f16_e32 v5, v127, v2             ; encoding: [0x7f,0x05,0x0a,0x6c]

v_fmac_f16 v5, vcc_hi, v2
// GFX12: v_fmac_f16_e32 v5, vcc_hi, v2           ; encoding: [0x6b,0x04,0x0a,0x6c]

v_fmac_f16 v5, vcc_lo, v2
// GFX12: v_fmac_f16_e32 v5, vcc_lo, v2           ; encoding: [0x6a,0x04,0x0a,0x6c]

v_fmac_f32 v255, 0xaf123456, v255
// GFX12: v_fmac_f32_e32 v255, 0xaf123456, v255   ; encoding: [0xff,0xfe,0xff,0x57,0x56,0x34,0x12,0xaf]

v_fmac_f32 v5, -1, v2
// GFX12: v_fmac_f32_e32 v5, -1, v2               ; encoding: [0xc1,0x04,0x0a,0x56]

v_fmac_f32 v5, 0.5, v2
// GFX12: v_fmac_f32_e32 v5, 0.5, v2              ; encoding: [0xf0,0x04,0x0a,0x56]

v_fmac_f32 v5, exec_hi, v2
// GFX12: v_fmac_f32_e32 v5, exec_hi, v2          ; encoding: [0x7f,0x04,0x0a,0x56]

v_fmac_f32 v5, exec_lo, v2
// GFX12: v_fmac_f32_e32 v5, exec_lo, v2          ; encoding: [0x7e,0x04,0x0a,0x56]

v_fmac_f32 v5, m0, v2
// GFX12: v_fmac_f32_e32 v5, m0, v2               ; encoding: [0x7d,0x04,0x0a,0x56]

v_fmac_f32 v5, null, v2
// GFX12: v_fmac_f32_e32 v5, null, v2             ; encoding: [0x7c,0x04,0x0a,0x56]

v_fmac_f32 v5, s1, v2
// GFX12: v_fmac_f32_e32 v5, s1, v2               ; encoding: [0x01,0x04,0x0a,0x56]

v_fmac_f32 v5, s105, v2
// GFX12: v_fmac_f32_e32 v5, s105, v2             ; encoding: [0x69,0x04,0x0a,0x56]

v_fmac_f32 v5, src_scc, v2
// GFX12: v_fmac_f32_e32 v5, src_scc, v2          ; encoding: [0xfd,0x04,0x0a,0x56]

v_fmac_f32 v5, ttmp15, v2
// GFX12: v_fmac_f32_e32 v5, ttmp15, v2           ; encoding: [0x7b,0x04,0x0a,0x56]

v_fmac_f32 v5, v1, v2
// GFX12: v_fmac_f32_e32 v5, v1, v2               ; encoding: [0x01,0x05,0x0a,0x56]

v_fmac_f32 v5, v255, v2
// GFX12: v_fmac_f32_e32 v5, v255, v2             ; encoding: [0xff,0x05,0x0a,0x56]

v_fmac_f32 v5, vcc_hi, v2
// GFX12: v_fmac_f32_e32 v5, vcc_hi, v2           ; encoding: [0x6b,0x04,0x0a,0x56]

v_fmac_f32 v5, vcc_lo, v2
// GFX12: v_fmac_f32_e32 v5, vcc_lo, v2           ; encoding: [0x6a,0x04,0x0a,0x56]

v_fmamk_f16 v127, 0xfe0b, 0xfe0b, v127
// GFX12: v_fmamk_f16 v127, 0xfe0b, 0xfe0b, v127  ; encoding: [0xff,0xfe,0xfe,0x6e,0x0b,0xfe,0x00,0x00]

v_fmamk_f16 v5, -1, 0xfe0b, v3
// GFX12: v_fmamk_f16 v5, -1, 0xfe0b, v3          ; encoding: [0xc1,0x06,0x0a,0x6e,0x0b,0xfe,0x00,0x00]

v_fmamk_f16 v5, 0.5, 0xfe0b, v3
// GFX12: v_fmamk_f16 v5, 0.5, 0xfe0b, v3         ; encoding: [0xf0,0x06,0x0a,0x6e,0x0b,0xfe,0x00,0x00]

v_fmamk_f16 v5, exec_hi, 0xfe0b, v3
// GFX12: v_fmamk_f16 v5, exec_hi, 0xfe0b, v3     ; encoding: [0x7f,0x06,0x0a,0x6e,0x0b,0xfe,0x00,0x00]

v_fmamk_f16 v5, exec_lo, 0xfe0b, v3
// GFX12: v_fmamk_f16 v5, exec_lo, 0xfe0b, v3     ; encoding: [0x7e,0x06,0x0a,0x6e,0x0b,0xfe,0x00,0x00]

v_fmamk_f16 v5, m0, 0xfe0b, v3
// GFX12: v_fmamk_f16 v5, m0, 0xfe0b, v3          ; encoding: [0x7d,0x06,0x0a,0x6e,0x0b,0xfe,0x00,0x00]

v_fmamk_f16 v5, null, 0xfe0b, v3
// GFX12: v_fmamk_f16 v5, null, 0xfe0b, v3        ; encoding: [0x7c,0x06,0x0a,0x6e,0x0b,0xfe,0x00,0x00]

v_fmamk_f16 v5, s1, 0xfe0b, v3
// GFX12: v_fmamk_f16 v5, s1, 0xfe0b, v3          ; encoding: [0x01,0x06,0x0a,0x6e,0x0b,0xfe,0x00,0x00]

v_fmamk_f16 v5, s105, 0xfe0b, v3
// GFX12: v_fmamk_f16 v5, s105, 0xfe0b, v3        ; encoding: [0x69,0x06,0x0a,0x6e,0x0b,0xfe,0x00,0x00]

v_fmamk_f16 v5, src_scc, 0xfe0b, v3
// GFX12: v_fmamk_f16 v5, src_scc, 0xfe0b, v3     ; encoding: [0xfd,0x06,0x0a,0x6e,0x0b,0xfe,0x00,0x00]

v_fmamk_f16 v5, ttmp15, 0xfe0b, v3
// GFX12: v_fmamk_f16 v5, ttmp15, 0xfe0b, v3      ; encoding: [0x7b,0x06,0x0a,0x6e,0x0b,0xfe,0x00,0x00]

v_fmamk_f16 v5, v1, 0xfe0b, v3
// GFX12: v_fmamk_f16 v5, v1, 0xfe0b, v3          ; encoding: [0x01,0x07,0x0a,0x6e,0x0b,0xfe,0x00,0x00]

v_fmamk_f16 v5, v127, 0xfe0b, v3
// GFX12: v_fmamk_f16 v5, v127, 0xfe0b, v3        ; encoding: [0x7f,0x07,0x0a,0x6e,0x0b,0xfe,0x00,0x00]

v_fmamk_f16 v5, vcc_hi, 0xfe0b, v3
// GFX12: v_fmamk_f16 v5, vcc_hi, 0xfe0b, v3      ; encoding: [0x6b,0x06,0x0a,0x6e,0x0b,0xfe,0x00,0x00]

v_fmamk_f16 v5, vcc_lo, 0xfe0b, v3
// GFX12: v_fmamk_f16 v5, vcc_lo, 0xfe0b, v3      ; encoding: [0x6a,0x06,0x0a,0x6e,0x0b,0xfe,0x00,0x00]

v_fmamk_f32 v255, 0xaf123456, 0xaf123456, v255
// GFX12: v_fmamk_f32 v255, 0xaf123456, 0xaf123456, v255 ; encoding: [0xff,0xfe,0xff,0x59,0x56,0x34,0x12,0xaf]

v_fmamk_f32 v5, -1, 0xaf123456, v3
// GFX12: v_fmamk_f32 v5, -1, 0xaf123456, v3      ; encoding: [0xc1,0x06,0x0a,0x58,0x56,0x34,0x12,0xaf]

v_fmamk_f32 v5, 0.5, 0xaf123456, v3
// GFX12: v_fmamk_f32 v5, 0.5, 0xaf123456, v3     ; encoding: [0xf0,0x06,0x0a,0x58,0x56,0x34,0x12,0xaf]

v_fmamk_f32 v5, exec_hi, 0xaf123456, v3
// GFX12: v_fmamk_f32 v5, exec_hi, 0xaf123456, v3 ; encoding: [0x7f,0x06,0x0a,0x58,0x56,0x34,0x12,0xaf]

v_fmamk_f32 v5, exec_lo, 0xaf123456, v3
// GFX12: v_fmamk_f32 v5, exec_lo, 0xaf123456, v3 ; encoding: [0x7e,0x06,0x0a,0x58,0x56,0x34,0x12,0xaf]

v_fmamk_f32 v5, m0, 0xaf123456, v3
// GFX12: v_fmamk_f32 v5, m0, 0xaf123456, v3      ; encoding: [0x7d,0x06,0x0a,0x58,0x56,0x34,0x12,0xaf]

v_fmamk_f32 v5, null, 0xaf123456, v3
// GFX12: v_fmamk_f32 v5, null, 0xaf123456, v3    ; encoding: [0x7c,0x06,0x0a,0x58,0x56,0x34,0x12,0xaf]

v_fmamk_f32 v5, s1, 0xaf123456, v3
// GFX12: v_fmamk_f32 v5, s1, 0xaf123456, v3      ; encoding: [0x01,0x06,0x0a,0x58,0x56,0x34,0x12,0xaf]

v_fmamk_f32 v5, s105, 0xaf123456, v3
// GFX12: v_fmamk_f32 v5, s105, 0xaf123456, v3    ; encoding: [0x69,0x06,0x0a,0x58,0x56,0x34,0x12,0xaf]

v_fmamk_f32 v5, src_scc, 0xaf123456, v3
// GFX12: v_fmamk_f32 v5, src_scc, 0xaf123456, v3 ; encoding: [0xfd,0x06,0x0a,0x58,0x56,0x34,0x12,0xaf]

v_fmamk_f32 v5, ttmp15, 0xaf123456, v3
// GFX12: v_fmamk_f32 v5, ttmp15, 0xaf123456, v3  ; encoding: [0x7b,0x06,0x0a,0x58,0x56,0x34,0x12,0xaf]

v_fmamk_f32 v5, v1, 0xaf123456, v3
// GFX12: v_fmamk_f32 v5, v1, 0xaf123456, v3      ; encoding: [0x01,0x07,0x0a,0x58,0x56,0x34,0x12,0xaf]

v_fmamk_f32 v5, v255, 0xaf123456, v3
// GFX12: v_fmamk_f32 v5, v255, 0xaf123456, v3    ; encoding: [0xff,0x07,0x0a,0x58,0x56,0x34,0x12,0xaf]

v_fmamk_f32 v5, vcc_hi, 0xaf123456, v3
// GFX12: v_fmamk_f32 v5, vcc_hi, 0xaf123456, v3  ; encoding: [0x6b,0x06,0x0a,0x58,0x56,0x34,0x12,0xaf]

v_fmamk_f32 v5, vcc_lo, 0xaf123456, v3
// GFX12: v_fmamk_f32 v5, vcc_lo, 0xaf123456, v3  ; encoding: [0x6a,0x06,0x0a,0x58,0x56,0x34,0x12,0xaf]

v_ldexp_f16 v127, 0xfe0b, v127
// GFX12: v_ldexp_f16_e32 v127, 0xfe0b, v127      ; encoding: [0xff,0xfe,0xfe,0x76,0x0b,0xfe,0x00,0x00]

v_ldexp_f16 v5, -1, v2
// GFX12: v_ldexp_f16_e32 v5, -1, v2              ; encoding: [0xc1,0x04,0x0a,0x76]

v_ldexp_f16 v5, 0.5, v2
// GFX12: v_ldexp_f16_e32 v5, 0.5, v2             ; encoding: [0xf0,0x04,0x0a,0x76]

v_ldexp_f16 v5, exec_hi, v2
// GFX12: v_ldexp_f16_e32 v5, exec_hi, v2         ; encoding: [0x7f,0x04,0x0a,0x76]

v_ldexp_f16 v5, exec_lo, v2
// GFX12: v_ldexp_f16_e32 v5, exec_lo, v2         ; encoding: [0x7e,0x04,0x0a,0x76]

v_ldexp_f16 v5, m0, v2
// GFX12: v_ldexp_f16_e32 v5, m0, v2              ; encoding: [0x7d,0x04,0x0a,0x76]

v_ldexp_f16 v5, null, v2
// GFX12: v_ldexp_f16_e32 v5, null, v2            ; encoding: [0x7c,0x04,0x0a,0x76]

v_ldexp_f16 v5, s1, v2
// GFX12: v_ldexp_f16_e32 v5, s1, v2              ; encoding: [0x01,0x04,0x0a,0x76]

v_ldexp_f16 v5, s105, v2
// GFX12: v_ldexp_f16_e32 v5, s105, v2            ; encoding: [0x69,0x04,0x0a,0x76]

v_ldexp_f16 v5, src_scc, v2
// GFX12: v_ldexp_f16_e32 v5, src_scc, v2         ; encoding: [0xfd,0x04,0x0a,0x76]

v_ldexp_f16 v5, ttmp15, v2
// GFX12: v_ldexp_f16_e32 v5, ttmp15, v2          ; encoding: [0x7b,0x04,0x0a,0x76]

v_ldexp_f16 v5, v1, v2
// GFX12: v_ldexp_f16_e32 v5, v1, v2              ; encoding: [0x01,0x05,0x0a,0x76]

v_ldexp_f16 v5, v127, v2
// GFX12: v_ldexp_f16_e32 v5, v127, v2            ; encoding: [0x7f,0x05,0x0a,0x76]

v_ldexp_f16 v5, vcc_hi, v2
// GFX12: v_ldexp_f16_e32 v5, vcc_hi, v2          ; encoding: [0x6b,0x04,0x0a,0x76]

v_ldexp_f16 v5, vcc_lo, v2
// GFX12: v_ldexp_f16_e32 v5, vcc_lo, v2          ; encoding: [0x6a,0x04,0x0a,0x76]

v_lshlrev_b32 v255, 0xaf123456, v255
// GFX12: v_lshlrev_b32_e32 v255, 0xaf123456, v255 ; encoding: [0xff,0xfe,0xff,0x31,0x56,0x34,0x12,0xaf]

v_lshlrev_b32 v5, -1, v2
// GFX12: v_lshlrev_b32_e32 v5, -1, v2            ; encoding: [0xc1,0x04,0x0a,0x30]

v_lshlrev_b32 v5, 0.5, v2
// GFX12: v_lshlrev_b32_e32 v5, 0.5, v2           ; encoding: [0xf0,0x04,0x0a,0x30]

v_lshlrev_b32 v5, exec_hi, v2
// GFX12: v_lshlrev_b32_e32 v5, exec_hi, v2       ; encoding: [0x7f,0x04,0x0a,0x30]

v_lshlrev_b32 v5, exec_lo, v2
// GFX12: v_lshlrev_b32_e32 v5, exec_lo, v2       ; encoding: [0x7e,0x04,0x0a,0x30]

v_lshlrev_b32 v5, m0, v2
// GFX12: v_lshlrev_b32_e32 v5, m0, v2            ; encoding: [0x7d,0x04,0x0a,0x30]

v_lshlrev_b32 v5, null, v2
// GFX12: v_lshlrev_b32_e32 v5, null, v2          ; encoding: [0x7c,0x04,0x0a,0x30]

v_lshlrev_b32 v5, s1, v2
// GFX12: v_lshlrev_b32_e32 v5, s1, v2            ; encoding: [0x01,0x04,0x0a,0x30]

v_lshlrev_b32 v5, s105, v2
// GFX12: v_lshlrev_b32_e32 v5, s105, v2          ; encoding: [0x69,0x04,0x0a,0x30]

v_lshlrev_b32 v5, src_scc, v2
// GFX12: v_lshlrev_b32_e32 v5, src_scc, v2       ; encoding: [0xfd,0x04,0x0a,0x30]

v_lshlrev_b32 v5, ttmp15, v2
// GFX12: v_lshlrev_b32_e32 v5, ttmp15, v2        ; encoding: [0x7b,0x04,0x0a,0x30]

v_lshlrev_b32 v5, v1, v2
// GFX12: v_lshlrev_b32_e32 v5, v1, v2            ; encoding: [0x01,0x05,0x0a,0x30]

v_lshlrev_b32 v5, v255, v2
// GFX12: v_lshlrev_b32_e32 v5, v255, v2          ; encoding: [0xff,0x05,0x0a,0x30]

v_lshlrev_b32 v5, vcc_hi, v2
// GFX12: v_lshlrev_b32_e32 v5, vcc_hi, v2        ; encoding: [0x6b,0x04,0x0a,0x30]

v_lshlrev_b32 v5, vcc_lo, v2
// GFX12: v_lshlrev_b32_e32 v5, vcc_lo, v2        ; encoding: [0x6a,0x04,0x0a,0x30]

v_lshlrev_b64 v[254:255], 0xaf123456, v[254:255]
// GFX12: v_lshlrev_b64_e32 v[254:255], 0xaf123456, v[254:255] ; encoding: [0xff,0xfc,0xfd,0x3f,0x56,0x34,0x12,0xaf]

v_lshlrev_b64 v[5:6], -1, v[2:3]
// GFX12: v_lshlrev_b64_e32 v[5:6], -1, v[2:3]    ; encoding: [0xc1,0x04,0x0a,0x3e]

v_lshlrev_b64 v[5:6], 0.5, v[2:3]
// GFX12: v_lshlrev_b64_e32 v[5:6], 0.5, v[2:3]   ; encoding: [0xf0,0x04,0x0a,0x3e]

v_lshlrev_b64 v[5:6], exec_hi, v[2:3]
// GFX12: v_lshlrev_b64_e32 v[5:6], exec_hi, v[2:3] ; encoding: [0x7f,0x04,0x0a,0x3e]

v_lshlrev_b64 v[5:6], exec_lo, v[2:3]
// GFX12: v_lshlrev_b64_e32 v[5:6], exec_lo, v[2:3] ; encoding: [0x7e,0x04,0x0a,0x3e]

v_lshlrev_b64 v[5:6], null, v[2:3]
// GFX12: v_lshlrev_b64_e32 v[5:6], null, v[2:3]  ; encoding: [0x7c,0x04,0x0a,0x3e]

v_lshlrev_b64 v[5:6], s1, v[2:3]
// GFX12: v_lshlrev_b64_e32 v[5:6], s1, v[2:3]    ; encoding: [0x01,0x04,0x0a,0x3e]

v_lshlrev_b64 v[5:6], s105, v[2:3]
// GFX12: v_lshlrev_b64_e32 v[5:6], s105, v[2:3]  ; encoding: [0x69,0x04,0x0a,0x3e]

v_lshlrev_b64 v[5:6], src_scc, v[2:3]
// GFX12: v_lshlrev_b64_e32 v[5:6], src_scc, v[2:3] ; encoding: [0xfd,0x04,0x0a,0x3e]

v_lshlrev_b64 v[5:6], ttmp15, v[2:3]
// GFX12: v_lshlrev_b64_e32 v[5:6], ttmp15, v[2:3] ; encoding: [0x7b,0x04,0x0a,0x3e]

v_lshlrev_b64 v[5:6], v1, v[3:4]
// GFX12: v_lshlrev_b64_e32 v[5:6], v1, v[3:4]    ; encoding: [0x01,0x07,0x0a,0x3e]

v_lshlrev_b64 v[5:6], v255, v[2:3]
// GFX12: v_lshlrev_b64_e32 v[5:6], v255, v[2:3]  ; encoding: [0xff,0x05,0x0a,0x3e]

v_lshlrev_b64 v[5:6], vcc_hi, v[2:3]
// GFX12: v_lshlrev_b64_e32 v[5:6], vcc_hi, v[2:3] ; encoding: [0x6b,0x04,0x0a,0x3e]

v_lshlrev_b64 v[5:6], vcc_lo, v[2:3]
// GFX12: v_lshlrev_b64_e32 v[5:6], vcc_lo, v[2:3] ; encoding: [0x6a,0x04,0x0a,0x3e]

v_lshrrev_b32 v255, 0xaf123456, v255
// GFX12: v_lshrrev_b32_e32 v255, 0xaf123456, v255 ; encoding: [0xff,0xfe,0xff,0x33,0x56,0x34,0x12,0xaf]

v_lshrrev_b32 v5, -1, v2
// GFX12: v_lshrrev_b32_e32 v5, -1, v2            ; encoding: [0xc1,0x04,0x0a,0x32]

v_lshrrev_b32 v5, 0.5, v2
// GFX12: v_lshrrev_b32_e32 v5, 0.5, v2           ; encoding: [0xf0,0x04,0x0a,0x32]

v_lshrrev_b32 v5, exec_hi, v2
// GFX12: v_lshrrev_b32_e32 v5, exec_hi, v2       ; encoding: [0x7f,0x04,0x0a,0x32]

v_lshrrev_b32 v5, exec_lo, v2
// GFX12: v_lshrrev_b32_e32 v5, exec_lo, v2       ; encoding: [0x7e,0x04,0x0a,0x32]

v_lshrrev_b32 v5, m0, v2
// GFX12: v_lshrrev_b32_e32 v5, m0, v2            ; encoding: [0x7d,0x04,0x0a,0x32]

v_lshrrev_b32 v5, null, v2
// GFX12: v_lshrrev_b32_e32 v5, null, v2          ; encoding: [0x7c,0x04,0x0a,0x32]

v_lshrrev_b32 v5, s1, v2
// GFX12: v_lshrrev_b32_e32 v5, s1, v2            ; encoding: [0x01,0x04,0x0a,0x32]

v_lshrrev_b32 v5, s105, v2
// GFX12: v_lshrrev_b32_e32 v5, s105, v2          ; encoding: [0x69,0x04,0x0a,0x32]

v_lshrrev_b32 v5, src_scc, v2
// GFX12: v_lshrrev_b32_e32 v5, src_scc, v2       ; encoding: [0xfd,0x04,0x0a,0x32]

v_lshrrev_b32 v5, ttmp15, v2
// GFX12: v_lshrrev_b32_e32 v5, ttmp15, v2        ; encoding: [0x7b,0x04,0x0a,0x32]

v_lshrrev_b32 v5, v1, v2
// GFX12: v_lshrrev_b32_e32 v5, v1, v2            ; encoding: [0x01,0x05,0x0a,0x32]

v_lshrrev_b32 v5, v255, v2
// GFX12: v_lshrrev_b32_e32 v5, v255, v2          ; encoding: [0xff,0x05,0x0a,0x32]

v_lshrrev_b32 v5, vcc_hi, v2
// GFX12: v_lshrrev_b32_e32 v5, vcc_hi, v2        ; encoding: [0x6b,0x04,0x0a,0x32]

v_lshrrev_b32 v5, vcc_lo, v2
// GFX12: v_lshrrev_b32_e32 v5, vcc_lo, v2        ; encoding: [0x6a,0x04,0x0a,0x32]

v_max_i32 v255, 0xaf123456, v255
// GFX12: v_max_i32_e32 v255, 0xaf123456, v255    ; encoding: [0xff,0xfe,0xff,0x25,0x56,0x34,0x12,0xaf]

v_max_i32 v5, -1, v2
// GFX12: v_max_i32_e32 v5, -1, v2                ; encoding: [0xc1,0x04,0x0a,0x24]

v_max_i32 v5, 0.5, v2
// GFX12: v_max_i32_e32 v5, 0.5, v2               ; encoding: [0xf0,0x04,0x0a,0x24]

v_max_i32 v5, exec_hi, v2
// GFX12: v_max_i32_e32 v5, exec_hi, v2           ; encoding: [0x7f,0x04,0x0a,0x24]

v_max_i32 v5, exec_lo, v2
// GFX12: v_max_i32_e32 v5, exec_lo, v2           ; encoding: [0x7e,0x04,0x0a,0x24]

v_max_i32 v5, m0, v2
// GFX12: v_max_i32_e32 v5, m0, v2                ; encoding: [0x7d,0x04,0x0a,0x24]

v_max_i32 v5, null, v2
// GFX12: v_max_i32_e32 v5, null, v2              ; encoding: [0x7c,0x04,0x0a,0x24]

v_max_i32 v5, s1, v2
// GFX12: v_max_i32_e32 v5, s1, v2                ; encoding: [0x01,0x04,0x0a,0x24]

v_max_i32 v5, s105, v2
// GFX12: v_max_i32_e32 v5, s105, v2              ; encoding: [0x69,0x04,0x0a,0x24]

v_max_i32 v5, src_scc, v2
// GFX12: v_max_i32_e32 v5, src_scc, v2           ; encoding: [0xfd,0x04,0x0a,0x24]

v_max_i32 v5, ttmp15, v2
// GFX12: v_max_i32_e32 v5, ttmp15, v2            ; encoding: [0x7b,0x04,0x0a,0x24]

v_max_i32 v5, v1, v2
// GFX12: v_max_i32_e32 v5, v1, v2                ; encoding: [0x01,0x05,0x0a,0x24]

v_max_i32 v5, v255, v2
// GFX12: v_max_i32_e32 v5, v255, v2              ; encoding: [0xff,0x05,0x0a,0x24]

v_max_i32 v5, vcc_hi, v2
// GFX12: v_max_i32_e32 v5, vcc_hi, v2            ; encoding: [0x6b,0x04,0x0a,0x24]

v_max_i32 v5, vcc_lo, v2
// GFX12: v_max_i32_e32 v5, vcc_lo, v2            ; encoding: [0x6a,0x04,0x0a,0x24]

v_max_num_f16 v127, 0xfe0b, v127
// GFX12: v_max_num_f16_e32 v127, 0xfe0b, v127    ; encoding: [0xff,0xfe,0xfe,0x62,0x0b,0xfe,0x00,0x00]

v_max_num_f16 v5, -1, v2
// GFX12: v_max_num_f16_e32 v5, -1, v2            ; encoding: [0xc1,0x04,0x0a,0x62]

v_max_num_f16 v5, 0.5, v2
// GFX12: v_max_num_f16_e32 v5, 0.5, v2           ; encoding: [0xf0,0x04,0x0a,0x62]

v_max_num_f16 v5, exec_hi, v2
// GFX12: v_max_num_f16_e32 v5, exec_hi, v2       ; encoding: [0x7f,0x04,0x0a,0x62]

v_max_num_f16 v5, exec_lo, v2
// GFX12: v_max_num_f16_e32 v5, exec_lo, v2       ; encoding: [0x7e,0x04,0x0a,0x62]

v_max_num_f16 v5, m0, v2
// GFX12: v_max_num_f16_e32 v5, m0, v2            ; encoding: [0x7d,0x04,0x0a,0x62]

v_max_num_f16 v5, null, v2
// GFX12: v_max_num_f16_e32 v5, null, v2          ; encoding: [0x7c,0x04,0x0a,0x62]

v_max_num_f16 v5, s1, v2
// GFX12: v_max_num_f16_e32 v5, s1, v2            ; encoding: [0x01,0x04,0x0a,0x62]

v_max_num_f16 v5, s105, v2
// GFX12: v_max_num_f16_e32 v5, s105, v2          ; encoding: [0x69,0x04,0x0a,0x62]

v_max_num_f16 v5, src_scc, v2
// GFX12: v_max_num_f16_e32 v5, src_scc, v2       ; encoding: [0xfd,0x04,0x0a,0x62]

v_max_num_f16 v5, ttmp15, v2
// GFX12: v_max_num_f16_e32 v5, ttmp15, v2        ; encoding: [0x7b,0x04,0x0a,0x62]

v_max_num_f16 v5, v1, v2
// GFX12: v_max_num_f16_e32 v5, v1, v2            ; encoding: [0x01,0x05,0x0a,0x62]

v_max_num_f16 v5, v127, v2
// GFX12: v_max_num_f16_e32 v5, v127, v2          ; encoding: [0x7f,0x05,0x0a,0x62]

v_max_num_f16 v5, vcc_hi, v2
// GFX12: v_max_num_f16_e32 v5, vcc_hi, v2        ; encoding: [0x6b,0x04,0x0a,0x62]

v_max_num_f16 v5, vcc_lo, v2
// GFX12: v_max_num_f16_e32 v5, vcc_lo, v2        ; encoding: [0x6a,0x04,0x0a,0x62]

v_max_num_f32 v255, 0xaf123456, v255
// GFX12: v_max_num_f32_e32 v255, 0xaf123456, v255 ; encoding: [0xff,0xfe,0xff,0x2d,0x56,0x34,0x12,0xaf]

v_max_num_f32 v5, -1, v2
// GFX12: v_max_num_f32_e32 v5, -1, v2            ; encoding: [0xc1,0x04,0x0a,0x2c]

v_max_num_f32 v5, 0.5, v2
// GFX12: v_max_num_f32_e32 v5, 0.5, v2           ; encoding: [0xf0,0x04,0x0a,0x2c]

v_max_num_f32 v5, exec_hi, v2
// GFX12: v_max_num_f32_e32 v5, exec_hi, v2       ; encoding: [0x7f,0x04,0x0a,0x2c]

v_max_num_f32 v5, exec_lo, v2
// GFX12: v_max_num_f32_e32 v5, exec_lo, v2       ; encoding: [0x7e,0x04,0x0a,0x2c]

v_max_num_f32 v5, m0, v2
// GFX12: v_max_num_f32_e32 v5, m0, v2            ; encoding: [0x7d,0x04,0x0a,0x2c]

v_max_num_f32 v5, null, v2
// GFX12: v_max_num_f32_e32 v5, null, v2          ; encoding: [0x7c,0x04,0x0a,0x2c]

v_max_num_f32 v5, s1, v2
// GFX12: v_max_num_f32_e32 v5, s1, v2            ; encoding: [0x01,0x04,0x0a,0x2c]

v_max_num_f32 v5, s105, v2
// GFX12: v_max_num_f32_e32 v5, s105, v2          ; encoding: [0x69,0x04,0x0a,0x2c]

v_max_num_f32 v5, src_scc, v2
// GFX12: v_max_num_f32_e32 v5, src_scc, v2       ; encoding: [0xfd,0x04,0x0a,0x2c]

v_max_num_f32 v5, ttmp15, v2
// GFX12: v_max_num_f32_e32 v5, ttmp15, v2        ; encoding: [0x7b,0x04,0x0a,0x2c]

v_max_num_f32 v5, v1, v2
// GFX12: v_max_num_f32_e32 v5, v1, v2            ; encoding: [0x01,0x05,0x0a,0x2c]

v_max_num_f32 v5, v255, v2
// GFX12: v_max_num_f32_e32 v5, v255, v2          ; encoding: [0xff,0x05,0x0a,0x2c]

v_max_num_f32 v5, vcc_hi, v2
// GFX12: v_max_num_f32_e32 v5, vcc_hi, v2        ; encoding: [0x6b,0x04,0x0a,0x2c]

v_max_num_f32 v5, vcc_lo, v2
// GFX12: v_max_num_f32_e32 v5, vcc_lo, v2        ; encoding: [0x6a,0x04,0x0a,0x2c]

v_max_num_f64 v[254:255], 0xaf123456, v[254:255]
// GFX12: v_max_num_f64_e32 v[254:255], 0xaf123456, v[254:255] ; encoding: [0xff,0xfc,0xfd,0x1d,0x56,0x34,0x12,0xaf]

v_max_num_f64 v[5:6], -1, v[2:3]
// GFX12: v_max_num_f64_e32 v[5:6], -1, v[2:3]    ; encoding: [0xc1,0x04,0x0a,0x1c]

v_max_num_f64 v[5:6], 0.5, v[2:3]
// GFX12: v_max_num_f64_e32 v[5:6], 0.5, v[2:3]   ; encoding: [0xf0,0x04,0x0a,0x1c]

v_max_num_f64 v[5:6], exec, v[2:3]
// GFX12: v_max_num_f64_e32 v[5:6], exec, v[2:3]  ; encoding: [0x7e,0x04,0x0a,0x1c]

v_max_num_f64 v[5:6], null, v[2:3]
// GFX12: v_max_num_f64_e32 v[5:6], null, v[2:3]  ; encoding: [0x7c,0x04,0x0a,0x1c]

v_max_num_f64 v[5:6], s[0:1], v[2:3]
// GFX12: v_max_num_f64_e32 v[5:6], s[0:1], v[2:3] ; encoding: [0x00,0x04,0x0a,0x1c]

v_max_num_f64 v[5:6], s[104:105], v[2:3]
// GFX12: v_max_num_f64_e32 v[5:6], s[104:105], v[2:3] ; encoding: [0x68,0x04,0x0a,0x1c]

v_max_num_f64 v[5:6], src_scc, v[2:3]
// GFX12: v_max_num_f64_e32 v[5:6], src_scc, v[2:3] ; encoding: [0xfd,0x04,0x0a,0x1c]

v_max_num_f64 v[5:6], ttmp[14:15], v[2:3]
// GFX12: v_max_num_f64_e32 v[5:6], ttmp[14:15], v[2:3] ; encoding: [0x7a,0x04,0x0a,0x1c]

v_max_num_f64 v[5:6], v[1:2], v[3:4]
// GFX12: v_max_num_f64_e32 v[5:6], v[1:2], v[3:4] ; encoding: [0x01,0x07,0x0a,0x1c]

v_max_num_f64 v[5:6], v[254:255], v[2:3]
// GFX12: v_max_num_f64_e32 v[5:6], v[254:255], v[2:3] ; encoding: [0xfe,0x05,0x0a,0x1c]

v_max_num_f64 v[5:6], vcc, v[2:3]
// GFX12: v_max_num_f64_e32 v[5:6], vcc, v[2:3]   ; encoding: [0x6a,0x04,0x0a,0x1c]

v_max_u32 v255, 0xaf123456, v255
// GFX12: v_max_u32_e32 v255, 0xaf123456, v255    ; encoding: [0xff,0xfe,0xff,0x29,0x56,0x34,0x12,0xaf]

v_max_u32 v5, -1, v2
// GFX12: v_max_u32_e32 v5, -1, v2                ; encoding: [0xc1,0x04,0x0a,0x28]

v_max_u32 v5, 0.5, v2
// GFX12: v_max_u32_e32 v5, 0.5, v2               ; encoding: [0xf0,0x04,0x0a,0x28]

v_max_u32 v5, exec_hi, v2
// GFX12: v_max_u32_e32 v5, exec_hi, v2           ; encoding: [0x7f,0x04,0x0a,0x28]

v_max_u32 v5, exec_lo, v2
// GFX12: v_max_u32_e32 v5, exec_lo, v2           ; encoding: [0x7e,0x04,0x0a,0x28]

v_max_u32 v5, m0, v2
// GFX12: v_max_u32_e32 v5, m0, v2                ; encoding: [0x7d,0x04,0x0a,0x28]

v_max_u32 v5, null, v2
// GFX12: v_max_u32_e32 v5, null, v2              ; encoding: [0x7c,0x04,0x0a,0x28]

v_max_u32 v5, s1, v2
// GFX12: v_max_u32_e32 v5, s1, v2                ; encoding: [0x01,0x04,0x0a,0x28]

v_max_u32 v5, s105, v2
// GFX12: v_max_u32_e32 v5, s105, v2              ; encoding: [0x69,0x04,0x0a,0x28]

v_max_u32 v5, src_scc, v2
// GFX12: v_max_u32_e32 v5, src_scc, v2           ; encoding: [0xfd,0x04,0x0a,0x28]

v_max_u32 v5, ttmp15, v2
// GFX12: v_max_u32_e32 v5, ttmp15, v2            ; encoding: [0x7b,0x04,0x0a,0x28]

v_max_u32 v5, v1, v2
// GFX12: v_max_u32_e32 v5, v1, v2                ; encoding: [0x01,0x05,0x0a,0x28]

v_max_u32 v5, v255, v2
// GFX12: v_max_u32_e32 v5, v255, v2              ; encoding: [0xff,0x05,0x0a,0x28]

v_max_u32 v5, vcc_hi, v2
// GFX12: v_max_u32_e32 v5, vcc_hi, v2            ; encoding: [0x6b,0x04,0x0a,0x28]

v_max_u32 v5, vcc_lo, v2
// GFX12: v_max_u32_e32 v5, vcc_lo, v2            ; encoding: [0x6a,0x04,0x0a,0x28]

v_min_i32 v255, 0xaf123456, v255
// GFX12: v_min_i32_e32 v255, 0xaf123456, v255    ; encoding: [0xff,0xfe,0xff,0x23,0x56,0x34,0x12,0xaf]

v_min_i32 v5, -1, v2
// GFX12: v_min_i32_e32 v5, -1, v2                ; encoding: [0xc1,0x04,0x0a,0x22]

v_min_i32 v5, 0.5, v2
// GFX12: v_min_i32_e32 v5, 0.5, v2               ; encoding: [0xf0,0x04,0x0a,0x22]

v_min_i32 v5, exec_hi, v2
// GFX12: v_min_i32_e32 v5, exec_hi, v2           ; encoding: [0x7f,0x04,0x0a,0x22]

v_min_i32 v5, exec_lo, v2
// GFX12: v_min_i32_e32 v5, exec_lo, v2           ; encoding: [0x7e,0x04,0x0a,0x22]

v_min_i32 v5, m0, v2
// GFX12: v_min_i32_e32 v5, m0, v2                ; encoding: [0x7d,0x04,0x0a,0x22]

v_min_i32 v5, null, v2
// GFX12: v_min_i32_e32 v5, null, v2              ; encoding: [0x7c,0x04,0x0a,0x22]

v_min_i32 v5, s1, v2
// GFX12: v_min_i32_e32 v5, s1, v2                ; encoding: [0x01,0x04,0x0a,0x22]

v_min_i32 v5, s105, v2
// GFX12: v_min_i32_e32 v5, s105, v2              ; encoding: [0x69,0x04,0x0a,0x22]

v_min_i32 v5, src_scc, v2
// GFX12: v_min_i32_e32 v5, src_scc, v2           ; encoding: [0xfd,0x04,0x0a,0x22]

v_min_i32 v5, ttmp15, v2
// GFX12: v_min_i32_e32 v5, ttmp15, v2            ; encoding: [0x7b,0x04,0x0a,0x22]

v_min_i32 v5, v1, v2
// GFX12: v_min_i32_e32 v5, v1, v2                ; encoding: [0x01,0x05,0x0a,0x22]

v_min_i32 v5, v255, v2
// GFX12: v_min_i32_e32 v5, v255, v2              ; encoding: [0xff,0x05,0x0a,0x22]

v_min_i32 v5, vcc_hi, v2
// GFX12: v_min_i32_e32 v5, vcc_hi, v2            ; encoding: [0x6b,0x04,0x0a,0x22]

v_min_i32 v5, vcc_lo, v2
// GFX12: v_min_i32_e32 v5, vcc_lo, v2            ; encoding: [0x6a,0x04,0x0a,0x22]

v_min_num_f16 v127, 0xfe0b, v127
// GFX12: v_min_num_f16_e32 v127, 0xfe0b, v127    ; encoding: [0xff,0xfe,0xfe,0x60,0x0b,0xfe,0x00,0x00]

v_min_num_f16 v5, -1, v2
// GFX12: v_min_num_f16_e32 v5, -1, v2            ; encoding: [0xc1,0x04,0x0a,0x60]

v_min_num_f16 v5, 0.5, v2
// GFX12: v_min_num_f16_e32 v5, 0.5, v2           ; encoding: [0xf0,0x04,0x0a,0x60]

v_min_num_f16 v5, exec_hi, v2
// GFX12: v_min_num_f16_e32 v5, exec_hi, v2       ; encoding: [0x7f,0x04,0x0a,0x60]

v_min_num_f16 v5, exec_lo, v2
// GFX12: v_min_num_f16_e32 v5, exec_lo, v2       ; encoding: [0x7e,0x04,0x0a,0x60]

v_min_num_f16 v5, m0, v2
// GFX12: v_min_num_f16_e32 v5, m0, v2            ; encoding: [0x7d,0x04,0x0a,0x60]

v_min_num_f16 v5, null, v2
// GFX12: v_min_num_f16_e32 v5, null, v2          ; encoding: [0x7c,0x04,0x0a,0x60]

v_min_num_f16 v5, s1, v2
// GFX12: v_min_num_f16_e32 v5, s1, v2            ; encoding: [0x01,0x04,0x0a,0x60]

v_min_num_f16 v5, s105, v2
// GFX12: v_min_num_f16_e32 v5, s105, v2          ; encoding: [0x69,0x04,0x0a,0x60]

v_min_num_f16 v5, src_scc, v2
// GFX12: v_min_num_f16_e32 v5, src_scc, v2       ; encoding: [0xfd,0x04,0x0a,0x60]

v_min_num_f16 v5, ttmp15, v2
// GFX12: v_min_num_f16_e32 v5, ttmp15, v2        ; encoding: [0x7b,0x04,0x0a,0x60]

v_min_num_f16 v5, v1, v2
// GFX12: v_min_num_f16_e32 v5, v1, v2            ; encoding: [0x01,0x05,0x0a,0x60]

v_min_num_f16 v5, v127, v2
// GFX12: v_min_num_f16_e32 v5, v127, v2          ; encoding: [0x7f,0x05,0x0a,0x60]

v_min_num_f16 v5, vcc_hi, v2
// GFX12: v_min_num_f16_e32 v5, vcc_hi, v2        ; encoding: [0x6b,0x04,0x0a,0x60]

v_min_num_f16 v5, vcc_lo, v2
// GFX12: v_min_num_f16_e32 v5, vcc_lo, v2        ; encoding: [0x6a,0x04,0x0a,0x60]

v_min_num_f32 v255, 0xaf123456, v255
// GFX12: v_min_num_f32_e32 v255, 0xaf123456, v255 ; encoding: [0xff,0xfe,0xff,0x2b,0x56,0x34,0x12,0xaf]

v_min_num_f32 v5, -1, v2
// GFX12: v_min_num_f32_e32 v5, -1, v2            ; encoding: [0xc1,0x04,0x0a,0x2a]

v_min_num_f32 v5, 0.5, v2
// GFX12: v_min_num_f32_e32 v5, 0.5, v2           ; encoding: [0xf0,0x04,0x0a,0x2a]

v_min_num_f32 v5, exec_hi, v2
// GFX12: v_min_num_f32_e32 v5, exec_hi, v2       ; encoding: [0x7f,0x04,0x0a,0x2a]

v_min_num_f32 v5, exec_lo, v2
// GFX12: v_min_num_f32_e32 v5, exec_lo, v2       ; encoding: [0x7e,0x04,0x0a,0x2a]

v_min_num_f32 v5, m0, v2
// GFX12: v_min_num_f32_e32 v5, m0, v2            ; encoding: [0x7d,0x04,0x0a,0x2a]

v_min_num_f32 v5, null, v2
// GFX12: v_min_num_f32_e32 v5, null, v2          ; encoding: [0x7c,0x04,0x0a,0x2a]

v_min_num_f32 v5, s1, v2
// GFX12: v_min_num_f32_e32 v5, s1, v2            ; encoding: [0x01,0x04,0x0a,0x2a]

v_min_num_f32 v5, s105, v2
// GFX12: v_min_num_f32_e32 v5, s105, v2          ; encoding: [0x69,0x04,0x0a,0x2a]

v_min_num_f32 v5, src_scc, v2
// GFX12: v_min_num_f32_e32 v5, src_scc, v2       ; encoding: [0xfd,0x04,0x0a,0x2a]

v_min_num_f32 v5, ttmp15, v2
// GFX12: v_min_num_f32_e32 v5, ttmp15, v2        ; encoding: [0x7b,0x04,0x0a,0x2a]

v_min_num_f32 v5, v1, v2
// GFX12: v_min_num_f32_e32 v5, v1, v2            ; encoding: [0x01,0x05,0x0a,0x2a]

v_min_num_f32 v5, v255, v2
// GFX12: v_min_num_f32_e32 v5, v255, v2          ; encoding: [0xff,0x05,0x0a,0x2a]

v_min_num_f32 v5, vcc_hi, v2
// GFX12: v_min_num_f32_e32 v5, vcc_hi, v2        ; encoding: [0x6b,0x04,0x0a,0x2a]

v_min_num_f32 v5, vcc_lo, v2
// GFX12: v_min_num_f32_e32 v5, vcc_lo, v2        ; encoding: [0x6a,0x04,0x0a,0x2a]

v_min_num_f64 v[254:255], 0xaf123456, v[254:255]
// GFX12: v_min_num_f64_e32 v[254:255], 0xaf123456, v[254:255] ; encoding: [0xff,0xfc,0xfd,0x1b,0x56,0x34,0x12,0xaf]

v_min_num_f64 v[5:6], -1, v[2:3]
// GFX12: v_min_num_f64_e32 v[5:6], -1, v[2:3]    ; encoding: [0xc1,0x04,0x0a,0x1a]

v_min_num_f64 v[5:6], 0.5, v[2:3]
// GFX12: v_min_num_f64_e32 v[5:6], 0.5, v[2:3]   ; encoding: [0xf0,0x04,0x0a,0x1a]

v_min_num_f64 v[5:6], exec, v[2:3]
// GFX12: v_min_num_f64_e32 v[5:6], exec, v[2:3]  ; encoding: [0x7e,0x04,0x0a,0x1a]

v_min_num_f64 v[5:6], null, v[2:3]
// GFX12: v_min_num_f64_e32 v[5:6], null, v[2:3]  ; encoding: [0x7c,0x04,0x0a,0x1a]

v_min_num_f64 v[5:6], s[0:1], v[2:3]
// GFX12: v_min_num_f64_e32 v[5:6], s[0:1], v[2:3] ; encoding: [0x00,0x04,0x0a,0x1a]

v_min_num_f64 v[5:6], s[104:105], v[2:3]
// GFX12: v_min_num_f64_e32 v[5:6], s[104:105], v[2:3] ; encoding: [0x68,0x04,0x0a,0x1a]

v_min_num_f64 v[5:6], src_scc, v[2:3]
// GFX12: v_min_num_f64_e32 v[5:6], src_scc, v[2:3] ; encoding: [0xfd,0x04,0x0a,0x1a]

v_min_num_f64 v[5:6], ttmp[14:15], v[2:3]
// GFX12: v_min_num_f64_e32 v[5:6], ttmp[14:15], v[2:3] ; encoding: [0x7a,0x04,0x0a,0x1a]

v_min_num_f64 v[5:6], v[1:2], v[3:4]
// GFX12: v_min_num_f64_e32 v[5:6], v[1:2], v[3:4] ; encoding: [0x01,0x07,0x0a,0x1a]

v_min_num_f64 v[5:6], v[254:255], v[2:3]
// GFX12: v_min_num_f64_e32 v[5:6], v[254:255], v[2:3] ; encoding: [0xfe,0x05,0x0a,0x1a]

v_min_num_f64 v[5:6], vcc, v[2:3]
// GFX12: v_min_num_f64_e32 v[5:6], vcc, v[2:3]   ; encoding: [0x6a,0x04,0x0a,0x1a]

v_min_u32 v255, 0xaf123456, v255
// GFX12: v_min_u32_e32 v255, 0xaf123456, v255    ; encoding: [0xff,0xfe,0xff,0x27,0x56,0x34,0x12,0xaf]

v_min_u32 v5, -1, v2
// GFX12: v_min_u32_e32 v5, -1, v2                ; encoding: [0xc1,0x04,0x0a,0x26]

v_min_u32 v5, 0.5, v2
// GFX12: v_min_u32_e32 v5, 0.5, v2               ; encoding: [0xf0,0x04,0x0a,0x26]

v_min_u32 v5, exec_hi, v2
// GFX12: v_min_u32_e32 v5, exec_hi, v2           ; encoding: [0x7f,0x04,0x0a,0x26]

v_min_u32 v5, exec_lo, v2
// GFX12: v_min_u32_e32 v5, exec_lo, v2           ; encoding: [0x7e,0x04,0x0a,0x26]

v_min_u32 v5, m0, v2
// GFX12: v_min_u32_e32 v5, m0, v2                ; encoding: [0x7d,0x04,0x0a,0x26]

v_min_u32 v5, null, v2
// GFX12: v_min_u32_e32 v5, null, v2              ; encoding: [0x7c,0x04,0x0a,0x26]

v_min_u32 v5, s1, v2
// GFX12: v_min_u32_e32 v5, s1, v2                ; encoding: [0x01,0x04,0x0a,0x26]

v_min_u32 v5, s105, v2
// GFX12: v_min_u32_e32 v5, s105, v2              ; encoding: [0x69,0x04,0x0a,0x26]

v_min_u32 v5, src_scc, v2
// GFX12: v_min_u32_e32 v5, src_scc, v2           ; encoding: [0xfd,0x04,0x0a,0x26]

v_min_u32 v5, ttmp15, v2
// GFX12: v_min_u32_e32 v5, ttmp15, v2            ; encoding: [0x7b,0x04,0x0a,0x26]

v_min_u32 v5, v1, v2
// GFX12: v_min_u32_e32 v5, v1, v2                ; encoding: [0x01,0x05,0x0a,0x26]

v_min_u32 v5, v255, v2
// GFX12: v_min_u32_e32 v5, v255, v2              ; encoding: [0xff,0x05,0x0a,0x26]

v_min_u32 v5, vcc_hi, v2
// GFX12: v_min_u32_e32 v5, vcc_hi, v2            ; encoding: [0x6b,0x04,0x0a,0x26]

v_min_u32 v5, vcc_lo, v2
// GFX12: v_min_u32_e32 v5, vcc_lo, v2            ; encoding: [0x6a,0x04,0x0a,0x26]

v_mul_dx9_zero_f32 v255, 0xaf123456, v255
// GFX12: v_mul_dx9_zero_f32_e32 v255, 0xaf123456, v255 ; encoding: [0xff,0xfe,0xff,0x0f,0x56,0x34,0x12,0xaf]

v_mul_dx9_zero_f32 v5, -1, v2
// GFX12: v_mul_dx9_zero_f32_e32 v5, -1, v2       ; encoding: [0xc1,0x04,0x0a,0x0e]

v_mul_dx9_zero_f32 v5, 0.5, v2
// GFX12: v_mul_dx9_zero_f32_e32 v5, 0.5, v2      ; encoding: [0xf0,0x04,0x0a,0x0e]

v_mul_dx9_zero_f32 v5, exec_hi, v2
// GFX12: v_mul_dx9_zero_f32_e32 v5, exec_hi, v2  ; encoding: [0x7f,0x04,0x0a,0x0e]

v_mul_dx9_zero_f32 v5, exec_lo, v2
// GFX12: v_mul_dx9_zero_f32_e32 v5, exec_lo, v2  ; encoding: [0x7e,0x04,0x0a,0x0e]

v_mul_dx9_zero_f32 v5, m0, v2
// GFX12: v_mul_dx9_zero_f32_e32 v5, m0, v2       ; encoding: [0x7d,0x04,0x0a,0x0e]

v_mul_dx9_zero_f32 v5, null, v2
// GFX12: v_mul_dx9_zero_f32_e32 v5, null, v2     ; encoding: [0x7c,0x04,0x0a,0x0e]

v_mul_dx9_zero_f32 v5, s1, v2
// GFX12: v_mul_dx9_zero_f32_e32 v5, s1, v2       ; encoding: [0x01,0x04,0x0a,0x0e]

v_mul_dx9_zero_f32 v5, s105, v2
// GFX12: v_mul_dx9_zero_f32_e32 v5, s105, v2     ; encoding: [0x69,0x04,0x0a,0x0e]

v_mul_dx9_zero_f32 v5, src_scc, v2
// GFX12: v_mul_dx9_zero_f32_e32 v5, src_scc, v2  ; encoding: [0xfd,0x04,0x0a,0x0e]

v_mul_dx9_zero_f32 v5, ttmp15, v2
// GFX12: v_mul_dx9_zero_f32_e32 v5, ttmp15, v2   ; encoding: [0x7b,0x04,0x0a,0x0e]

v_mul_dx9_zero_f32 v5, v1, v2
// GFX12: v_mul_dx9_zero_f32_e32 v5, v1, v2       ; encoding: [0x01,0x05,0x0a,0x0e]

v_mul_dx9_zero_f32 v5, v255, v2
// GFX12: v_mul_dx9_zero_f32_e32 v5, v255, v2     ; encoding: [0xff,0x05,0x0a,0x0e]

v_mul_dx9_zero_f32 v5, vcc_hi, v2
// GFX12: v_mul_dx9_zero_f32_e32 v5, vcc_hi, v2   ; encoding: [0x6b,0x04,0x0a,0x0e]

v_mul_dx9_zero_f32 v5, vcc_lo, v2
// GFX12: v_mul_dx9_zero_f32_e32 v5, vcc_lo, v2   ; encoding: [0x6a,0x04,0x0a,0x0e]

v_mul_f16 v127, 0xfe0b, v127
// GFX12: v_mul_f16_e32 v127, 0xfe0b, v127        ; encoding: [0xff,0xfe,0xfe,0x6a,0x0b,0xfe,0x00,0x00]

v_mul_f16 v5, -1, v2
// GFX12: v_mul_f16_e32 v5, -1, v2                ; encoding: [0xc1,0x04,0x0a,0x6a]

v_mul_f16 v5, 0.5, v2
// GFX12: v_mul_f16_e32 v5, 0.5, v2               ; encoding: [0xf0,0x04,0x0a,0x6a]

v_mul_f16 v5, exec_hi, v2
// GFX12: v_mul_f16_e32 v5, exec_hi, v2           ; encoding: [0x7f,0x04,0x0a,0x6a]

v_mul_f16 v5, exec_lo, v2
// GFX12: v_mul_f16_e32 v5, exec_lo, v2           ; encoding: [0x7e,0x04,0x0a,0x6a]

v_mul_f16 v5, m0, v2
// GFX12: v_mul_f16_e32 v5, m0, v2                ; encoding: [0x7d,0x04,0x0a,0x6a]

v_mul_f16 v5, null, v2
// GFX12: v_mul_f16_e32 v5, null, v2              ; encoding: [0x7c,0x04,0x0a,0x6a]

v_mul_f16 v5, s1, v2
// GFX12: v_mul_f16_e32 v5, s1, v2                ; encoding: [0x01,0x04,0x0a,0x6a]

v_mul_f16 v5, s105, v2
// GFX12: v_mul_f16_e32 v5, s105, v2              ; encoding: [0x69,0x04,0x0a,0x6a]

v_mul_f16 v5, src_scc, v2
// GFX12: v_mul_f16_e32 v5, src_scc, v2           ; encoding: [0xfd,0x04,0x0a,0x6a]

v_mul_f16 v5, ttmp15, v2
// GFX12: v_mul_f16_e32 v5, ttmp15, v2            ; encoding: [0x7b,0x04,0x0a,0x6a]

v_mul_f16 v5, v1, v2
// GFX12: v_mul_f16_e32 v5, v1, v2                ; encoding: [0x01,0x05,0x0a,0x6a]

v_mul_f16 v5, v127, v2
// GFX12: v_mul_f16_e32 v5, v127, v2              ; encoding: [0x7f,0x05,0x0a,0x6a]

v_mul_f16 v5, vcc_hi, v2
// GFX12: v_mul_f16_e32 v5, vcc_hi, v2            ; encoding: [0x6b,0x04,0x0a,0x6a]

v_mul_f16 v5, vcc_lo, v2
// GFX12: v_mul_f16_e32 v5, vcc_lo, v2            ; encoding: [0x6a,0x04,0x0a,0x6a]

v_mul_f32 v255, 0xaf123456, v255
// GFX12: v_mul_f32_e32 v255, 0xaf123456, v255    ; encoding: [0xff,0xfe,0xff,0x11,0x56,0x34,0x12,0xaf]

v_mul_f32 v5, -1, v2
// GFX12: v_mul_f32_e32 v5, -1, v2                ; encoding: [0xc1,0x04,0x0a,0x10]

v_mul_f32 v5, 0.5, v2
// GFX12: v_mul_f32_e32 v5, 0.5, v2               ; encoding: [0xf0,0x04,0x0a,0x10]

v_mul_f32 v5, exec_hi, v2
// GFX12: v_mul_f32_e32 v5, exec_hi, v2           ; encoding: [0x7f,0x04,0x0a,0x10]

v_mul_f32 v5, exec_lo, v2
// GFX12: v_mul_f32_e32 v5, exec_lo, v2           ; encoding: [0x7e,0x04,0x0a,0x10]

v_mul_f32 v5, m0, v2
// GFX12: v_mul_f32_e32 v5, m0, v2                ; encoding: [0x7d,0x04,0x0a,0x10]

v_mul_f32 v5, null, v2
// GFX12: v_mul_f32_e32 v5, null, v2              ; encoding: [0x7c,0x04,0x0a,0x10]

v_mul_f32 v5, s1, v2
// GFX12: v_mul_f32_e32 v5, s1, v2                ; encoding: [0x01,0x04,0x0a,0x10]

v_mul_f32 v5, s105, v2
// GFX12: v_mul_f32_e32 v5, s105, v2              ; encoding: [0x69,0x04,0x0a,0x10]

v_mul_f32 v5, src_scc, v2
// GFX12: v_mul_f32_e32 v5, src_scc, v2           ; encoding: [0xfd,0x04,0x0a,0x10]

v_mul_f32 v5, ttmp15, v2
// GFX12: v_mul_f32_e32 v5, ttmp15, v2            ; encoding: [0x7b,0x04,0x0a,0x10]

v_mul_f32 v5, v1, v2
// GFX12: v_mul_f32_e32 v5, v1, v2                ; encoding: [0x01,0x05,0x0a,0x10]

v_mul_f32 v5, v255, v2
// GFX12: v_mul_f32_e32 v5, v255, v2              ; encoding: [0xff,0x05,0x0a,0x10]

v_mul_f32 v5, vcc_hi, v2
// GFX12: v_mul_f32_e32 v5, vcc_hi, v2            ; encoding: [0x6b,0x04,0x0a,0x10]

v_mul_f32 v5, vcc_lo, v2
// GFX12: v_mul_f32_e32 v5, vcc_lo, v2            ; encoding: [0x6a,0x04,0x0a,0x10]

v_mul_f64 v[254:255], 0xaf123456, v[254:255]
// GFX12: v_mul_f64_e32 v[254:255], 0xaf123456, v[254:255] ; encoding: [0xff,0xfc,0xfd,0x0d,0x56,0x34,0x12,0xaf]

v_mul_f64 v[5:6], -1, v[2:3]
// GFX12: v_mul_f64_e32 v[5:6], -1, v[2:3]        ; encoding: [0xc1,0x04,0x0a,0x0c]

v_mul_f64 v[5:6], 0.5, v[2:3]
// GFX12: v_mul_f64_e32 v[5:6], 0.5, v[2:3]       ; encoding: [0xf0,0x04,0x0a,0x0c]

v_mul_f64 v[5:6], exec, v[2:3]
// GFX12: v_mul_f64_e32 v[5:6], exec, v[2:3]      ; encoding: [0x7e,0x04,0x0a,0x0c]

v_mul_f64 v[5:6], null, v[2:3]
// GFX12: v_mul_f64_e32 v[5:6], null, v[2:3]      ; encoding: [0x7c,0x04,0x0a,0x0c]

v_mul_f64 v[5:6], s[0:1], v[2:3]
// GFX12: v_mul_f64_e32 v[5:6], s[0:1], v[2:3]    ; encoding: [0x00,0x04,0x0a,0x0c]

v_mul_f64 v[5:6], s[104:105], v[2:3]
// GFX12: v_mul_f64_e32 v[5:6], s[104:105], v[2:3] ; encoding: [0x68,0x04,0x0a,0x0c]

v_mul_f64 v[5:6], src_scc, v[2:3]
// GFX12: v_mul_f64_e32 v[5:6], src_scc, v[2:3]   ; encoding: [0xfd,0x04,0x0a,0x0c]

v_mul_f64 v[5:6], ttmp[14:15], v[2:3]
// GFX12: v_mul_f64_e32 v[5:6], ttmp[14:15], v[2:3] ; encoding: [0x7a,0x04,0x0a,0x0c]

v_mul_f64 v[5:6], v[1:2], v[3:4]
// GFX12: v_mul_f64_e32 v[5:6], v[1:2], v[3:4]    ; encoding: [0x01,0x07,0x0a,0x0c]

v_mul_f64 v[5:6], v[254:255], v[2:3]
// GFX12: v_mul_f64_e32 v[5:6], v[254:255], v[2:3] ; encoding: [0xfe,0x05,0x0a,0x0c]

v_mul_f64 v[5:6], vcc, v[2:3]
// GFX12: v_mul_f64_e32 v[5:6], vcc, v[2:3]       ; encoding: [0x6a,0x04,0x0a,0x0c]

v_mul_hi_i32_i24 v255, 0xaf123456, v255
// GFX12: v_mul_hi_i32_i24_e32 v255, 0xaf123456, v255 ; encoding: [0xff,0xfe,0xff,0x15,0x56,0x34,0x12,0xaf]

v_mul_hi_i32_i24 v5, -1, v2
// GFX12: v_mul_hi_i32_i24_e32 v5, -1, v2         ; encoding: [0xc1,0x04,0x0a,0x14]

v_mul_hi_i32_i24 v5, 0.5, v2
// GFX12: v_mul_hi_i32_i24_e32 v5, 0.5, v2        ; encoding: [0xf0,0x04,0x0a,0x14]

v_mul_hi_i32_i24 v5, exec_hi, v2
// GFX12: v_mul_hi_i32_i24_e32 v5, exec_hi, v2    ; encoding: [0x7f,0x04,0x0a,0x14]

v_mul_hi_i32_i24 v5, exec_lo, v2
// GFX12: v_mul_hi_i32_i24_e32 v5, exec_lo, v2    ; encoding: [0x7e,0x04,0x0a,0x14]

v_mul_hi_i32_i24 v5, m0, v2
// GFX12: v_mul_hi_i32_i24_e32 v5, m0, v2         ; encoding: [0x7d,0x04,0x0a,0x14]

v_mul_hi_i32_i24 v5, null, v2
// GFX12: v_mul_hi_i32_i24_e32 v5, null, v2       ; encoding: [0x7c,0x04,0x0a,0x14]

v_mul_hi_i32_i24 v5, s1, v2
// GFX12: v_mul_hi_i32_i24_e32 v5, s1, v2         ; encoding: [0x01,0x04,0x0a,0x14]

v_mul_hi_i32_i24 v5, s105, v2
// GFX12: v_mul_hi_i32_i24_e32 v5, s105, v2       ; encoding: [0x69,0x04,0x0a,0x14]

v_mul_hi_i32_i24 v5, src_scc, v2
// GFX12: v_mul_hi_i32_i24_e32 v5, src_scc, v2    ; encoding: [0xfd,0x04,0x0a,0x14]

v_mul_hi_i32_i24 v5, ttmp15, v2
// GFX12: v_mul_hi_i32_i24_e32 v5, ttmp15, v2     ; encoding: [0x7b,0x04,0x0a,0x14]

v_mul_hi_i32_i24 v5, v1, v2
// GFX12: v_mul_hi_i32_i24_e32 v5, v1, v2         ; encoding: [0x01,0x05,0x0a,0x14]

v_mul_hi_i32_i24 v5, v255, v2
// GFX12: v_mul_hi_i32_i24_e32 v5, v255, v2       ; encoding: [0xff,0x05,0x0a,0x14]

v_mul_hi_i32_i24 v5, vcc_hi, v2
// GFX12: v_mul_hi_i32_i24_e32 v5, vcc_hi, v2     ; encoding: [0x6b,0x04,0x0a,0x14]

v_mul_hi_i32_i24 v5, vcc_lo, v2
// GFX12: v_mul_hi_i32_i24_e32 v5, vcc_lo, v2     ; encoding: [0x6a,0x04,0x0a,0x14]

v_mul_hi_u32_u24 v255, 0xaf123456, v255
// GFX12: v_mul_hi_u32_u24_e32 v255, 0xaf123456, v255 ; encoding: [0xff,0xfe,0xff,0x19,0x56,0x34,0x12,0xaf]

v_mul_hi_u32_u24 v5, -1, v2
// GFX12: v_mul_hi_u32_u24_e32 v5, -1, v2         ; encoding: [0xc1,0x04,0x0a,0x18]

v_mul_hi_u32_u24 v5, 0.5, v2
// GFX12: v_mul_hi_u32_u24_e32 v5, 0.5, v2        ; encoding: [0xf0,0x04,0x0a,0x18]

v_mul_hi_u32_u24 v5, exec_hi, v2
// GFX12: v_mul_hi_u32_u24_e32 v5, exec_hi, v2    ; encoding: [0x7f,0x04,0x0a,0x18]

v_mul_hi_u32_u24 v5, exec_lo, v2
// GFX12: v_mul_hi_u32_u24_e32 v5, exec_lo, v2    ; encoding: [0x7e,0x04,0x0a,0x18]

v_mul_hi_u32_u24 v5, m0, v2
// GFX12: v_mul_hi_u32_u24_e32 v5, m0, v2         ; encoding: [0x7d,0x04,0x0a,0x18]

v_mul_hi_u32_u24 v5, null, v2
// GFX12: v_mul_hi_u32_u24_e32 v5, null, v2       ; encoding: [0x7c,0x04,0x0a,0x18]

v_mul_hi_u32_u24 v5, s1, v2
// GFX12: v_mul_hi_u32_u24_e32 v5, s1, v2         ; encoding: [0x01,0x04,0x0a,0x18]

v_mul_hi_u32_u24 v5, s105, v2
// GFX12: v_mul_hi_u32_u24_e32 v5, s105, v2       ; encoding: [0x69,0x04,0x0a,0x18]

v_mul_hi_u32_u24 v5, src_scc, v2
// GFX12: v_mul_hi_u32_u24_e32 v5, src_scc, v2    ; encoding: [0xfd,0x04,0x0a,0x18]

v_mul_hi_u32_u24 v5, ttmp15, v2
// GFX12: v_mul_hi_u32_u24_e32 v5, ttmp15, v2     ; encoding: [0x7b,0x04,0x0a,0x18]

v_mul_hi_u32_u24 v5, v1, v2
// GFX12: v_mul_hi_u32_u24_e32 v5, v1, v2         ; encoding: [0x01,0x05,0x0a,0x18]

v_mul_hi_u32_u24 v5, v255, v2
// GFX12: v_mul_hi_u32_u24_e32 v5, v255, v2       ; encoding: [0xff,0x05,0x0a,0x18]

v_mul_hi_u32_u24 v5, vcc_hi, v2
// GFX12: v_mul_hi_u32_u24_e32 v5, vcc_hi, v2     ; encoding: [0x6b,0x04,0x0a,0x18]

v_mul_hi_u32_u24 v5, vcc_lo, v2
// GFX12: v_mul_hi_u32_u24_e32 v5, vcc_lo, v2     ; encoding: [0x6a,0x04,0x0a,0x18]

v_mul_i32_i24 v255, 0xaf123456, v255
// GFX12: v_mul_i32_i24_e32 v255, 0xaf123456, v255 ; encoding: [0xff,0xfe,0xff,0x13,0x56,0x34,0x12,0xaf]

v_mul_i32_i24 v5, -1, v2
// GFX12: v_mul_i32_i24_e32 v5, -1, v2            ; encoding: [0xc1,0x04,0x0a,0x12]

v_mul_i32_i24 v5, 0.5, v2
// GFX12: v_mul_i32_i24_e32 v5, 0.5, v2           ; encoding: [0xf0,0x04,0x0a,0x12]

v_mul_i32_i24 v5, exec_hi, v2
// GFX12: v_mul_i32_i24_e32 v5, exec_hi, v2       ; encoding: [0x7f,0x04,0x0a,0x12]

v_mul_i32_i24 v5, exec_lo, v2
// GFX12: v_mul_i32_i24_e32 v5, exec_lo, v2       ; encoding: [0x7e,0x04,0x0a,0x12]

v_mul_i32_i24 v5, m0, v2
// GFX12: v_mul_i32_i24_e32 v5, m0, v2            ; encoding: [0x7d,0x04,0x0a,0x12]

v_mul_i32_i24 v5, null, v2
// GFX12: v_mul_i32_i24_e32 v5, null, v2          ; encoding: [0x7c,0x04,0x0a,0x12]

v_mul_i32_i24 v5, s1, v2
// GFX12: v_mul_i32_i24_e32 v5, s1, v2            ; encoding: [0x01,0x04,0x0a,0x12]

v_mul_i32_i24 v5, s105, v2
// GFX12: v_mul_i32_i24_e32 v5, s105, v2          ; encoding: [0x69,0x04,0x0a,0x12]

v_mul_i32_i24 v5, src_scc, v2
// GFX12: v_mul_i32_i24_e32 v5, src_scc, v2       ; encoding: [0xfd,0x04,0x0a,0x12]

v_mul_i32_i24 v5, ttmp15, v2
// GFX12: v_mul_i32_i24_e32 v5, ttmp15, v2        ; encoding: [0x7b,0x04,0x0a,0x12]

v_mul_i32_i24 v5, v1, v2
// GFX12: v_mul_i32_i24_e32 v5, v1, v2            ; encoding: [0x01,0x05,0x0a,0x12]

v_mul_i32_i24 v5, v255, v2
// GFX12: v_mul_i32_i24_e32 v5, v255, v2          ; encoding: [0xff,0x05,0x0a,0x12]

v_mul_i32_i24 v5, vcc_hi, v2
// GFX12: v_mul_i32_i24_e32 v5, vcc_hi, v2        ; encoding: [0x6b,0x04,0x0a,0x12]

v_mul_i32_i24 v5, vcc_lo, v2
// GFX12: v_mul_i32_i24_e32 v5, vcc_lo, v2        ; encoding: [0x6a,0x04,0x0a,0x12]

v_mul_legacy_f32 v255, 0xaf123456, v255
// GFX12: v_mul_dx9_zero_f32_e32 v255, 0xaf123456, v255 ; encoding: [0xff,0xfe,0xff,0x0f,0x56,0x34,0x12,0xaf]

v_mul_legacy_f32 v5, -1, v2
// GFX12: v_mul_dx9_zero_f32_e32 v5, -1, v2       ; encoding: [0xc1,0x04,0x0a,0x0e]

v_mul_legacy_f32 v5, 0.5, v2
// GFX12: v_mul_dx9_zero_f32_e32 v5, 0.5, v2      ; encoding: [0xf0,0x04,0x0a,0x0e]

v_mul_legacy_f32 v5, exec_hi, v2
// GFX12: v_mul_dx9_zero_f32_e32 v5, exec_hi, v2  ; encoding: [0x7f,0x04,0x0a,0x0e]

v_mul_legacy_f32 v5, exec_lo, v2
// GFX12: v_mul_dx9_zero_f32_e32 v5, exec_lo, v2  ; encoding: [0x7e,0x04,0x0a,0x0e]

v_mul_legacy_f32 v5, m0, v2
// GFX12: v_mul_dx9_zero_f32_e32 v5, m0, v2       ; encoding: [0x7d,0x04,0x0a,0x0e]

v_mul_legacy_f32 v5, null, v2
// GFX12: v_mul_dx9_zero_f32_e32 v5, null, v2     ; encoding: [0x7c,0x04,0x0a,0x0e]

v_mul_legacy_f32 v5, s1, v2
// GFX12: v_mul_dx9_zero_f32_e32 v5, s1, v2       ; encoding: [0x01,0x04,0x0a,0x0e]

v_mul_legacy_f32 v5, s105, v2
// GFX12: v_mul_dx9_zero_f32_e32 v5, s105, v2     ; encoding: [0x69,0x04,0x0a,0x0e]

v_mul_legacy_f32 v5, src_scc, v2
// GFX12: v_mul_dx9_zero_f32_e32 v5, src_scc, v2  ; encoding: [0xfd,0x04,0x0a,0x0e]

v_mul_legacy_f32 v5, ttmp15, v2
// GFX12: v_mul_dx9_zero_f32_e32 v5, ttmp15, v2   ; encoding: [0x7b,0x04,0x0a,0x0e]

v_mul_legacy_f32 v5, v1, v2
// GFX12: v_mul_dx9_zero_f32_e32 v5, v1, v2       ; encoding: [0x01,0x05,0x0a,0x0e]

v_mul_legacy_f32 v5, v255, v2
// GFX12: v_mul_dx9_zero_f32_e32 v5, v255, v2     ; encoding: [0xff,0x05,0x0a,0x0e]

v_mul_legacy_f32 v5, vcc_hi, v2
// GFX12: v_mul_dx9_zero_f32_e32 v5, vcc_hi, v2   ; encoding: [0x6b,0x04,0x0a,0x0e]

v_mul_legacy_f32 v5, vcc_lo, v2
// GFX12: v_mul_dx9_zero_f32_e32 v5, vcc_lo, v2   ; encoding: [0x6a,0x04,0x0a,0x0e]

v_mul_u32_u24 v255, 0xaf123456, v255
// GFX12: v_mul_u32_u24_e32 v255, 0xaf123456, v255 ; encoding: [0xff,0xfe,0xff,0x17,0x56,0x34,0x12,0xaf]

v_mul_u32_u24 v5, -1, v2
// GFX12: v_mul_u32_u24_e32 v5, -1, v2            ; encoding: [0xc1,0x04,0x0a,0x16]

v_mul_u32_u24 v5, 0.5, v2
// GFX12: v_mul_u32_u24_e32 v5, 0.5, v2           ; encoding: [0xf0,0x04,0x0a,0x16]

v_mul_u32_u24 v5, exec_hi, v2
// GFX12: v_mul_u32_u24_e32 v5, exec_hi, v2       ; encoding: [0x7f,0x04,0x0a,0x16]

v_mul_u32_u24 v5, exec_lo, v2
// GFX12: v_mul_u32_u24_e32 v5, exec_lo, v2       ; encoding: [0x7e,0x04,0x0a,0x16]

v_mul_u32_u24 v5, m0, v2
// GFX12: v_mul_u32_u24_e32 v5, m0, v2            ; encoding: [0x7d,0x04,0x0a,0x16]

v_mul_u32_u24 v5, null, v2
// GFX12: v_mul_u32_u24_e32 v5, null, v2          ; encoding: [0x7c,0x04,0x0a,0x16]

v_mul_u32_u24 v5, s1, v2
// GFX12: v_mul_u32_u24_e32 v5, s1, v2            ; encoding: [0x01,0x04,0x0a,0x16]

v_mul_u32_u24 v5, s105, v2
// GFX12: v_mul_u32_u24_e32 v5, s105, v2          ; encoding: [0x69,0x04,0x0a,0x16]

v_mul_u32_u24 v5, src_scc, v2
// GFX12: v_mul_u32_u24_e32 v5, src_scc, v2       ; encoding: [0xfd,0x04,0x0a,0x16]

v_mul_u32_u24 v5, ttmp15, v2
// GFX12: v_mul_u32_u24_e32 v5, ttmp15, v2        ; encoding: [0x7b,0x04,0x0a,0x16]

v_mul_u32_u24 v5, v1, v2
// GFX12: v_mul_u32_u24_e32 v5, v1, v2            ; encoding: [0x01,0x05,0x0a,0x16]

v_mul_u32_u24 v5, v255, v2
// GFX12: v_mul_u32_u24_e32 v5, v255, v2          ; encoding: [0xff,0x05,0x0a,0x16]

v_mul_u32_u24 v5, vcc_hi, v2
// GFX12: v_mul_u32_u24_e32 v5, vcc_hi, v2        ; encoding: [0x6b,0x04,0x0a,0x16]

v_mul_u32_u24 v5, vcc_lo, v2
// GFX12: v_mul_u32_u24_e32 v5, vcc_lo, v2        ; encoding: [0x6a,0x04,0x0a,0x16]

v_or_b32 v255, 0xaf123456, v255
// GFX12: v_or_b32_e32 v255, 0xaf123456, v255     ; encoding: [0xff,0xfe,0xff,0x39,0x56,0x34,0x12,0xaf]

v_or_b32 v5, -1, v2
// GFX12: v_or_b32_e32 v5, -1, v2                 ; encoding: [0xc1,0x04,0x0a,0x38]

v_or_b32 v5, 0.5, v2
// GFX12: v_or_b32_e32 v5, 0.5, v2                ; encoding: [0xf0,0x04,0x0a,0x38]

v_or_b32 v5, exec_hi, v2
// GFX12: v_or_b32_e32 v5, exec_hi, v2            ; encoding: [0x7f,0x04,0x0a,0x38]

v_or_b32 v5, exec_lo, v2
// GFX12: v_or_b32_e32 v5, exec_lo, v2            ; encoding: [0x7e,0x04,0x0a,0x38]

v_or_b32 v5, m0, v2
// GFX12: v_or_b32_e32 v5, m0, v2                 ; encoding: [0x7d,0x04,0x0a,0x38]

v_or_b32 v5, null, v2
// GFX12: v_or_b32_e32 v5, null, v2               ; encoding: [0x7c,0x04,0x0a,0x38]

v_or_b32 v5, s1, v2
// GFX12: v_or_b32_e32 v5, s1, v2                 ; encoding: [0x01,0x04,0x0a,0x38]

v_or_b32 v5, s105, v2
// GFX12: v_or_b32_e32 v5, s105, v2               ; encoding: [0x69,0x04,0x0a,0x38]

v_or_b32 v5, src_scc, v2
// GFX12: v_or_b32_e32 v5, src_scc, v2            ; encoding: [0xfd,0x04,0x0a,0x38]

v_or_b32 v5, ttmp15, v2
// GFX12: v_or_b32_e32 v5, ttmp15, v2             ; encoding: [0x7b,0x04,0x0a,0x38]

v_or_b32 v5, v1, v2
// GFX12: v_or_b32_e32 v5, v1, v2                 ; encoding: [0x01,0x05,0x0a,0x38]

v_or_b32 v5, v255, v2
// GFX12: v_or_b32_e32 v5, v255, v2               ; encoding: [0xff,0x05,0x0a,0x38]

v_or_b32 v5, vcc_hi, v2
// GFX12: v_or_b32_e32 v5, vcc_hi, v2             ; encoding: [0x6b,0x04,0x0a,0x38]

v_or_b32 v5, vcc_lo, v2
// GFX12: v_or_b32_e32 v5, vcc_lo, v2             ; encoding: [0x6a,0x04,0x0a,0x38]

v_pk_fmac_f16 v255, 0xfe0b, v255
// GFX12: v_pk_fmac_f16 v255, 0xfe0b, v255        ; encoding: [0xff,0xfe,0xff,0x79,0x0b,0xfe,0x00,0x00]

v_pk_fmac_f16 v5, -1, v2
// GFX12: v_pk_fmac_f16 v5, -1, v2                ; encoding: [0xc1,0x04,0x0a,0x78]

v_pk_fmac_f16 v5, 0.5, v2
// GFX12: v_pk_fmac_f16 v5, 0x3800, v2            ; encoding: [0xff,0x04,0x0a,0x78,0x00,0x38,0x00,0x00]

v_pk_fmac_f16 v5, 0x38003800, v2
// GFX12: v_pk_fmac_f16 v5, 0.5, v2               ; encoding: [0xf0,0x04,0x0a,0x78]

v_pk_fmac_f16 v5, exec_hi, v2
// GFX12: v_pk_fmac_f16 v5, exec_hi, v2           ; encoding: [0x7f,0x04,0x0a,0x78]

v_pk_fmac_f16 v5, exec_lo, v2
// GFX12: v_pk_fmac_f16 v5, exec_lo, v2           ; encoding: [0x7e,0x04,0x0a,0x78]

v_pk_fmac_f16 v5, m0, v2
// GFX12: v_pk_fmac_f16 v5, m0, v2                ; encoding: [0x7d,0x04,0x0a,0x78]

v_pk_fmac_f16 v5, null, v2
// GFX12: v_pk_fmac_f16 v5, null, v2              ; encoding: [0x7c,0x04,0x0a,0x78]

v_pk_fmac_f16 v5, s1, v2
// GFX12: v_pk_fmac_f16 v5, s1, v2                ; encoding: [0x01,0x04,0x0a,0x78]

v_pk_fmac_f16 v5, s105, v2
// GFX12: v_pk_fmac_f16 v5, s105, v2              ; encoding: [0x69,0x04,0x0a,0x78]

v_pk_fmac_f16 v5, src_scc, v2
// GFX12: v_pk_fmac_f16 v5, src_scc, v2           ; encoding: [0xfd,0x04,0x0a,0x78]

v_pk_fmac_f16 v5, ttmp15, v2
// GFX12: v_pk_fmac_f16 v5, ttmp15, v2            ; encoding: [0x7b,0x04,0x0a,0x78]

v_pk_fmac_f16 v5, v1, v2
// GFX12: v_pk_fmac_f16 v5, v1, v2                ; encoding: [0x01,0x05,0x0a,0x78]

v_pk_fmac_f16 v5, v255, v2
// GFX12: v_pk_fmac_f16 v5, v255, v2              ; encoding: [0xff,0x05,0x0a,0x78]

v_pk_fmac_f16 v5, vcc_hi, v2
// GFX12: v_pk_fmac_f16 v5, vcc_hi, v2            ; encoding: [0x6b,0x04,0x0a,0x78]

v_pk_fmac_f16 v5, vcc_lo, v2
// GFX12: v_pk_fmac_f16 v5, vcc_lo, v2            ; encoding: [0x6a,0x04,0x0a,0x78]

v_sub_co_ci_u32 v255, vcc, 0xaf123456, v255, vcc
// W32-ERR: :[[@LINE-1]]:1: error: operands are not valid for this GPU or mode
// W64: v_sub_co_ci_u32_e32 v255, vcc, 0xaf123456, v255, vcc ; encoding: [0xff,0xfe,0xff,0x43,0x56,0x34,0x12,0xaf]

v_sub_co_ci_u32 v255, vcc_lo, 0xaf123456, v255, vcc_lo
// W32: v_sub_co_ci_u32_e32 v255, vcc_lo, 0xaf123456, v255, vcc_lo ; encoding: [0xff,0xfe,0xff,0x43,0x56,0x34,0x12,0xaf]
// W64-ERR: :[[@LINE-2]]:1: error: operands are not valid for this GPU or mode

v_sub_co_ci_u32 v5, vcc, -1, v2, vcc
// W32-ERR: :[[@LINE-1]]:1: error: operands are not valid for this GPU or mode
// W64: v_sub_co_ci_u32_e32 v5, vcc, -1, v2, vcc ; encoding: [0xc1,0x04,0x0a,0x42]

v_sub_co_ci_u32 v5, vcc, 0.5, v2, vcc
// W32-ERR: :[[@LINE-1]]:1: error: operands are not valid for this GPU or mode
// W64: v_sub_co_ci_u32_e32 v5, vcc, 0.5, v2, vcc ; encoding: [0xf0,0x04,0x0a,0x42]

v_sub_co_ci_u32 v5, vcc, exec_hi, v2, vcc
// W32-ERR: :[[@LINE-1]]:1: error: operands are not valid for this GPU or mode
// W64: v_sub_co_ci_u32_e32 v5, vcc, exec_hi, v2, vcc ; encoding: [0x7f,0x04,0x0a,0x42]

v_sub_co_ci_u32 v5, vcc, exec_lo, v2, vcc
// W32-ERR: :[[@LINE-1]]:1: error: operands are not valid for this GPU or mode
// W64: v_sub_co_ci_u32_e32 v5, vcc, exec_lo, v2, vcc ; encoding: [0x7e,0x04,0x0a,0x42]

v_sub_co_ci_u32 v5, vcc, m0, v2, vcc
// W32-ERR: :[[@LINE-1]]:1: error: operands are not valid for this GPU or mode
// W64: v_sub_co_ci_u32_e32 v5, vcc, m0, v2, vcc ; encoding: [0x7d,0x04,0x0a,0x42]

v_sub_co_ci_u32 v5, vcc, null, v2, vcc
// W32-ERR: :[[@LINE-1]]:1: error: operands are not valid for this GPU or mode
// W64: v_sub_co_ci_u32_e32 v5, vcc, null, v2, vcc ; encoding: [0x7c,0x04,0x0a,0x42]

v_sub_co_ci_u32 v5, vcc, s1, v2, vcc
// W32-ERR: :[[@LINE-1]]:1: error: operands are not valid for this GPU or mode
// W64: v_sub_co_ci_u32_e32 v5, vcc, s1, v2, vcc ; encoding: [0x01,0x04,0x0a,0x42]

v_sub_co_ci_u32 v5, vcc, s105, v2, vcc
// W32-ERR: :[[@LINE-1]]:1: error: operands are not valid for this GPU or mode
// W64: v_sub_co_ci_u32_e32 v5, vcc, s105, v2, vcc ; encoding: [0x69,0x04,0x0a,0x42]

v_sub_co_ci_u32 v5, vcc, src_scc, v2, vcc
// W32-ERR: :[[@LINE-1]]:1: error: operands are not valid for this GPU or mode
// W64: v_sub_co_ci_u32_e32 v5, vcc, src_scc, v2, vcc ; encoding: [0xfd,0x04,0x0a,0x42]

v_sub_co_ci_u32 v5, vcc, ttmp15, v2, vcc
// W32-ERR: :[[@LINE-1]]:1: error: operands are not valid for this GPU or mode
// W64: v_sub_co_ci_u32_e32 v5, vcc, ttmp15, v2, vcc ; encoding: [0x7b,0x04,0x0a,0x42]

v_sub_co_ci_u32 v5, vcc, v1, v2, vcc
// W32-ERR: :[[@LINE-1]]:1: error: operands are not valid for this GPU or mode
// W64: v_sub_co_ci_u32_e32 v5, vcc, v1, v2, vcc ; encoding: [0x01,0x05,0x0a,0x42]

v_sub_co_ci_u32 v5, vcc, v255, v2, vcc
// W32-ERR: :[[@LINE-1]]:1: error: operands are not valid for this GPU or mode
// W64: v_sub_co_ci_u32_e32 v5, vcc, v255, v2, vcc ; encoding: [0xff,0x05,0x0a,0x42]

v_sub_co_ci_u32 v5, vcc, vcc_hi, v2, vcc
// W32-ERR: :[[@LINE-1]]:1: error: operands are not valid for this GPU or mode
// W64: v_sub_co_ci_u32_e32 v5, vcc, vcc_hi, v2, vcc ; encoding: [0x6b,0x04,0x0a,0x42]

v_sub_co_ci_u32 v5, vcc, vcc_lo, v2, vcc
// W32-ERR: :[[@LINE-1]]:1: error: operands are not valid for this GPU or mode
// W64: v_sub_co_ci_u32_e32 v5, vcc, vcc_lo, v2, vcc ; encoding: [0x6a,0x04,0x0a,0x42]

v_sub_co_ci_u32 v5, vcc_lo, -1, v2, vcc_lo
// W32: v_sub_co_ci_u32_e32 v5, vcc_lo, -1, v2, vcc_lo ; encoding: [0xc1,0x04,0x0a,0x42]
// W64-ERR: :[[@LINE-2]]:1: error: operands are not valid for this GPU or mode

v_sub_co_ci_u32 v5, vcc_lo, 0.5, v2, vcc_lo
// W32: v_sub_co_ci_u32_e32 v5, vcc_lo, 0.5, v2, vcc_lo ; encoding: [0xf0,0x04,0x0a,0x42]
// W64-ERR: :[[@LINE-2]]:1: error: operands are not valid for this GPU or mode

v_sub_co_ci_u32 v5, vcc_lo, exec_hi, v2, vcc_lo
// W32: v_sub_co_ci_u32_e32 v5, vcc_lo, exec_hi, v2, vcc_lo ; encoding: [0x7f,0x04,0x0a,0x42]
// W64-ERR: :[[@LINE-2]]:1: error: operands are not valid for this GPU or mode

v_sub_co_ci_u32 v5, vcc_lo, exec_lo, v2, vcc_lo
// W32: v_sub_co_ci_u32_e32 v5, vcc_lo, exec_lo, v2, vcc_lo ; encoding: [0x7e,0x04,0x0a,0x42]
// W64-ERR: :[[@LINE-2]]:1: error: operands are not valid for this GPU or mode

v_sub_co_ci_u32 v5, vcc_lo, m0, v2, vcc_lo
// W32: v_sub_co_ci_u32_e32 v5, vcc_lo, m0, v2, vcc_lo ; encoding: [0x7d,0x04,0x0a,0x42]
// W64-ERR: :[[@LINE-2]]:1: error: operands are not valid for this GPU or mode

v_sub_co_ci_u32 v5, vcc_lo, null, v2, vcc_lo
// W32: v_sub_co_ci_u32_e32 v5, vcc_lo, null, v2, vcc_lo ; encoding: [0x7c,0x04,0x0a,0x42]
// W64-ERR: :[[@LINE-2]]:1: error: operands are not valid for this GPU or mode

v_sub_co_ci_u32 v5, vcc_lo, s1, v2, vcc_lo
// W32: v_sub_co_ci_u32_e32 v5, vcc_lo, s1, v2, vcc_lo ; encoding: [0x01,0x04,0x0a,0x42]
// W64-ERR: :[[@LINE-2]]:1: error: operands are not valid for this GPU or mode

v_sub_co_ci_u32 v5, vcc_lo, s105, v2, vcc_lo
// W32: v_sub_co_ci_u32_e32 v5, vcc_lo, s105, v2, vcc_lo ; encoding: [0x69,0x04,0x0a,0x42]
// W64-ERR: :[[@LINE-2]]:1: error: operands are not valid for this GPU or mode

v_sub_co_ci_u32 v5, vcc_lo, src_scc, v2, vcc_lo
// W32: v_sub_co_ci_u32_e32 v5, vcc_lo, src_scc, v2, vcc_lo ; encoding: [0xfd,0x04,0x0a,0x42]
// W64-ERR: :[[@LINE-2]]:1: error: operands are not valid for this GPU or mode

v_sub_co_ci_u32 v5, vcc_lo, ttmp15, v2, vcc_lo
// W32: v_sub_co_ci_u32_e32 v5, vcc_lo, ttmp15, v2, vcc_lo ; encoding: [0x7b,0x04,0x0a,0x42]
// W64-ERR: :[[@LINE-2]]:1: error: operands are not valid for this GPU or mode

v_sub_co_ci_u32 v5, vcc_lo, v1, v2, vcc_lo
// W32: v_sub_co_ci_u32_e32 v5, vcc_lo, v1, v2, vcc_lo ; encoding: [0x01,0x05,0x0a,0x42]
// W64-ERR: :[[@LINE-2]]:1: error: operands are not valid for this GPU or mode

v_sub_co_ci_u32 v5, vcc_lo, v255, v2, vcc_lo
// W32: v_sub_co_ci_u32_e32 v5, vcc_lo, v255, v2, vcc_lo ; encoding: [0xff,0x05,0x0a,0x42]
// W64-ERR: :[[@LINE-2]]:1: error: operands are not valid for this GPU or mode

v_sub_co_ci_u32 v5, vcc_lo, vcc_hi, v2, vcc_lo
// W32: v_sub_co_ci_u32_e32 v5, vcc_lo, vcc_hi, v2, vcc_lo ; encoding: [0x6b,0x04,0x0a,0x42]
// W64-ERR: :[[@LINE-2]]:1: error: operands are not valid for this GPU or mode

v_sub_co_ci_u32 v5, vcc_lo, vcc_lo, v2, vcc_lo
// W32: v_sub_co_ci_u32_e32 v5, vcc_lo, vcc_lo, v2, vcc_lo ; encoding: [0x6a,0x04,0x0a,0x42]
// W64-ERR: :[[@LINE-2]]:1: error: operands are not valid for this GPU or mode

v_sub_f16 v127, 0xfe0b, v127
// GFX12: v_sub_f16_e32 v127, 0xfe0b, v127        ; encoding: [0xff,0xfe,0xfe,0x66,0x0b,0xfe,0x00,0x00]

v_sub_f16 v5, -1, v2
// GFX12: v_sub_f16_e32 v5, -1, v2                ; encoding: [0xc1,0x04,0x0a,0x66]

v_sub_f16 v5, 0.5, v2
// GFX12: v_sub_f16_e32 v5, 0.5, v2               ; encoding: [0xf0,0x04,0x0a,0x66]

v_sub_f16 v5, exec_hi, v2
// GFX12: v_sub_f16_e32 v5, exec_hi, v2           ; encoding: [0x7f,0x04,0x0a,0x66]

v_sub_f16 v5, exec_lo, v2
// GFX12: v_sub_f16_e32 v5, exec_lo, v2           ; encoding: [0x7e,0x04,0x0a,0x66]

v_sub_f16 v5, m0, v2
// GFX12: v_sub_f16_e32 v5, m0, v2                ; encoding: [0x7d,0x04,0x0a,0x66]

v_sub_f16 v5, null, v2
// GFX12: v_sub_f16_e32 v5, null, v2              ; encoding: [0x7c,0x04,0x0a,0x66]

v_sub_f16 v5, s1, v2
// GFX12: v_sub_f16_e32 v5, s1, v2                ; encoding: [0x01,0x04,0x0a,0x66]

v_sub_f16 v5, s105, v2
// GFX12: v_sub_f16_e32 v5, s105, v2              ; encoding: [0x69,0x04,0x0a,0x66]

v_sub_f16 v5, src_scc, v2
// GFX12: v_sub_f16_e32 v5, src_scc, v2           ; encoding: [0xfd,0x04,0x0a,0x66]

v_sub_f16 v5, ttmp15, v2
// GFX12: v_sub_f16_e32 v5, ttmp15, v2            ; encoding: [0x7b,0x04,0x0a,0x66]

v_sub_f16 v5, v1, v2
// GFX12: v_sub_f16_e32 v5, v1, v2                ; encoding: [0x01,0x05,0x0a,0x66]

v_sub_f16 v5, v127, v2
// GFX12: v_sub_f16_e32 v5, v127, v2              ; encoding: [0x7f,0x05,0x0a,0x66]

v_sub_f16 v5, vcc_hi, v2
// GFX12: v_sub_f16_e32 v5, vcc_hi, v2            ; encoding: [0x6b,0x04,0x0a,0x66]

v_sub_f16 v5, vcc_lo, v2
// GFX12: v_sub_f16_e32 v5, vcc_lo, v2            ; encoding: [0x6a,0x04,0x0a,0x66]

v_sub_f32 v255, 0xaf123456, v255
// GFX12: v_sub_f32_e32 v255, 0xaf123456, v255    ; encoding: [0xff,0xfe,0xff,0x09,0x56,0x34,0x12,0xaf]

v_sub_f32 v5, -1, v2
// GFX12: v_sub_f32_e32 v5, -1, v2                ; encoding: [0xc1,0x04,0x0a,0x08]

v_sub_f32 v5, 0.5, v2
// GFX12: v_sub_f32_e32 v5, 0.5, v2               ; encoding: [0xf0,0x04,0x0a,0x08]

v_sub_f32 v5, exec_hi, v2
// GFX12: v_sub_f32_e32 v5, exec_hi, v2           ; encoding: [0x7f,0x04,0x0a,0x08]

v_sub_f32 v5, exec_lo, v2
// GFX12: v_sub_f32_e32 v5, exec_lo, v2           ; encoding: [0x7e,0x04,0x0a,0x08]

v_sub_f32 v5, m0, v2
// GFX12: v_sub_f32_e32 v5, m0, v2                ; encoding: [0x7d,0x04,0x0a,0x08]

v_sub_f32 v5, null, v2
// GFX12: v_sub_f32_e32 v5, null, v2              ; encoding: [0x7c,0x04,0x0a,0x08]

v_sub_f32 v5, s1, v2
// GFX12: v_sub_f32_e32 v5, s1, v2                ; encoding: [0x01,0x04,0x0a,0x08]

v_sub_f32 v5, s105, v2
// GFX12: v_sub_f32_e32 v5, s105, v2              ; encoding: [0x69,0x04,0x0a,0x08]

v_sub_f32 v5, src_scc, v2
// GFX12: v_sub_f32_e32 v5, src_scc, v2           ; encoding: [0xfd,0x04,0x0a,0x08]

v_sub_f32 v5, ttmp15, v2
// GFX12: v_sub_f32_e32 v5, ttmp15, v2            ; encoding: [0x7b,0x04,0x0a,0x08]

v_sub_f32 v5, v1, v2
// GFX12: v_sub_f32_e32 v5, v1, v2                ; encoding: [0x01,0x05,0x0a,0x08]

v_sub_f32 v5, v255, v2
// GFX12: v_sub_f32_e32 v5, v255, v2              ; encoding: [0xff,0x05,0x0a,0x08]

v_sub_f32 v5, vcc_hi, v2
// GFX12: v_sub_f32_e32 v5, vcc_hi, v2            ; encoding: [0x6b,0x04,0x0a,0x08]

v_sub_f32 v5, vcc_lo, v2
// GFX12: v_sub_f32_e32 v5, vcc_lo, v2            ; encoding: [0x6a,0x04,0x0a,0x08]

v_sub_nc_u32 v255, 0xaf123456, v255
// GFX12: v_sub_nc_u32_e32 v255, 0xaf123456, v255 ; encoding: [0xff,0xfe,0xff,0x4d,0x56,0x34,0x12,0xaf]

v_sub_nc_u32 v5, -1, v2
// GFX12: v_sub_nc_u32_e32 v5, -1, v2             ; encoding: [0xc1,0x04,0x0a,0x4c]

v_sub_nc_u32 v5, 0.5, v2
// GFX12: v_sub_nc_u32_e32 v5, 0.5, v2            ; encoding: [0xf0,0x04,0x0a,0x4c]

v_sub_nc_u32 v5, exec_hi, v2
// GFX12: v_sub_nc_u32_e32 v5, exec_hi, v2        ; encoding: [0x7f,0x04,0x0a,0x4c]

v_sub_nc_u32 v5, exec_lo, v2
// GFX12: v_sub_nc_u32_e32 v5, exec_lo, v2        ; encoding: [0x7e,0x04,0x0a,0x4c]

v_sub_nc_u32 v5, m0, v2
// GFX12: v_sub_nc_u32_e32 v5, m0, v2             ; encoding: [0x7d,0x04,0x0a,0x4c]

v_sub_nc_u32 v5, null, v2
// GFX12: v_sub_nc_u32_e32 v5, null, v2           ; encoding: [0x7c,0x04,0x0a,0x4c]

v_sub_nc_u32 v5, s1, v2
// GFX12: v_sub_nc_u32_e32 v5, s1, v2             ; encoding: [0x01,0x04,0x0a,0x4c]

v_sub_nc_u32 v5, s105, v2
// GFX12: v_sub_nc_u32_e32 v5, s105, v2           ; encoding: [0x69,0x04,0x0a,0x4c]

v_sub_nc_u32 v5, src_scc, v2
// GFX12: v_sub_nc_u32_e32 v5, src_scc, v2        ; encoding: [0xfd,0x04,0x0a,0x4c]

v_sub_nc_u32 v5, ttmp15, v2
// GFX12: v_sub_nc_u32_e32 v5, ttmp15, v2         ; encoding: [0x7b,0x04,0x0a,0x4c]

v_sub_nc_u32 v5, v1, v2
// GFX12: v_sub_nc_u32_e32 v5, v1, v2             ; encoding: [0x01,0x05,0x0a,0x4c]

v_sub_nc_u32 v5, v255, v2
// GFX12: v_sub_nc_u32_e32 v5, v255, v2           ; encoding: [0xff,0x05,0x0a,0x4c]

v_sub_nc_u32 v5, vcc_hi, v2
// GFX12: v_sub_nc_u32_e32 v5, vcc_hi, v2         ; encoding: [0x6b,0x04,0x0a,0x4c]

v_sub_nc_u32 v5, vcc_lo, v2
// GFX12: v_sub_nc_u32_e32 v5, vcc_lo, v2         ; encoding: [0x6a,0x04,0x0a,0x4c]

v_subrev_co_ci_u32 v255, vcc, 0xaf123456, v255, vcc
// W32-ERR: :[[@LINE-1]]:1: error: operands are not valid for this GPU or mode
// W64: v_subrev_co_ci_u32_e32 v255, vcc, 0xaf123456, v255, vcc ; encoding: [0xff,0xfe,0xff,0x45,0x56,0x34,0x12,0xaf]

v_subrev_co_ci_u32 v255, vcc_lo, 0xaf123456, v255, vcc_lo
// W32: v_subrev_co_ci_u32_e32 v255, vcc_lo, 0xaf123456, v255, vcc_lo ; encoding: [0xff,0xfe,0xff,0x45,0x56,0x34,0x12,0xaf]
// W64-ERR: :[[@LINE-2]]:1: error: operands are not valid for this GPU or mode

v_subrev_co_ci_u32 v5, vcc, -1, v2, vcc
// W32-ERR: :[[@LINE-1]]:1: error: operands are not valid for this GPU or mode
// W64: v_subrev_co_ci_u32_e32 v5, vcc, -1, v2, vcc ; encoding: [0xc1,0x04,0x0a,0x44]

v_subrev_co_ci_u32 v5, vcc, 0.5, v2, vcc
// W32-ERR: :[[@LINE-1]]:1: error: operands are not valid for this GPU or mode
// W64: v_subrev_co_ci_u32_e32 v5, vcc, 0.5, v2, vcc ; encoding: [0xf0,0x04,0x0a,0x44]

v_subrev_co_ci_u32 v5, vcc, exec_hi, v2, vcc
// W32-ERR: :[[@LINE-1]]:1: error: operands are not valid for this GPU or mode
// W64: v_subrev_co_ci_u32_e32 v5, vcc, exec_hi, v2, vcc ; encoding: [0x7f,0x04,0x0a,0x44]

v_subrev_co_ci_u32 v5, vcc, exec_lo, v2, vcc
// W32-ERR: :[[@LINE-1]]:1: error: operands are not valid for this GPU or mode
// W64: v_subrev_co_ci_u32_e32 v5, vcc, exec_lo, v2, vcc ; encoding: [0x7e,0x04,0x0a,0x44]

v_subrev_co_ci_u32 v5, vcc, m0, v2, vcc
// W32-ERR: :[[@LINE-1]]:1: error: operands are not valid for this GPU or mode
// W64: v_subrev_co_ci_u32_e32 v5, vcc, m0, v2, vcc ; encoding: [0x7d,0x04,0x0a,0x44]

v_subrev_co_ci_u32 v5, vcc, null, v2, vcc
// W32-ERR: :[[@LINE-1]]:1: error: operands are not valid for this GPU or mode
// W64: v_subrev_co_ci_u32_e32 v5, vcc, null, v2, vcc ; encoding: [0x7c,0x04,0x0a,0x44]

v_subrev_co_ci_u32 v5, vcc, s1, v2, vcc
// W32-ERR: :[[@LINE-1]]:1: error: operands are not valid for this GPU or mode
// W64: v_subrev_co_ci_u32_e32 v5, vcc, s1, v2, vcc ; encoding: [0x01,0x04,0x0a,0x44]

v_subrev_co_ci_u32 v5, vcc, s105, v2, vcc
// W32-ERR: :[[@LINE-1]]:1: error: operands are not valid for this GPU or mode
// W64: v_subrev_co_ci_u32_e32 v5, vcc, s105, v2, vcc ; encoding: [0x69,0x04,0x0a,0x44]

v_subrev_co_ci_u32 v5, vcc, src_scc, v2, vcc
// W32-ERR: :[[@LINE-1]]:1: error: operands are not valid for this GPU or mode
// W64: v_subrev_co_ci_u32_e32 v5, vcc, src_scc, v2, vcc ; encoding: [0xfd,0x04,0x0a,0x44]

v_subrev_co_ci_u32 v5, vcc, ttmp15, v2, vcc
// W32-ERR: :[[@LINE-1]]:1: error: operands are not valid for this GPU or mode
// W64: v_subrev_co_ci_u32_e32 v5, vcc, ttmp15, v2, vcc ; encoding: [0x7b,0x04,0x0a,0x44]

v_subrev_co_ci_u32 v5, vcc, v1, v2, vcc
// W32-ERR: :[[@LINE-1]]:1: error: operands are not valid for this GPU or mode
// W64: v_subrev_co_ci_u32_e32 v5, vcc, v1, v2, vcc ; encoding: [0x01,0x05,0x0a,0x44]

v_subrev_co_ci_u32 v5, vcc, v255, v2, vcc
// W32-ERR: :[[@LINE-1]]:1: error: operands are not valid for this GPU or mode
// W64: v_subrev_co_ci_u32_e32 v5, vcc, v255, v2, vcc ; encoding: [0xff,0x05,0x0a,0x44]

v_subrev_co_ci_u32 v5, vcc, vcc_hi, v2, vcc
// W32-ERR: :[[@LINE-1]]:1: error: operands are not valid for this GPU or mode
// W64: v_subrev_co_ci_u32_e32 v5, vcc, vcc_hi, v2, vcc ; encoding: [0x6b,0x04,0x0a,0x44]

v_subrev_co_ci_u32 v5, vcc, vcc_lo, v2, vcc
// W32-ERR: :[[@LINE-1]]:1: error: operands are not valid for this GPU or mode
// W64: v_subrev_co_ci_u32_e32 v5, vcc, vcc_lo, v2, vcc ; encoding: [0x6a,0x04,0x0a,0x44]

v_subrev_co_ci_u32 v5, vcc_lo, -1, v2, vcc_lo
// W32: v_subrev_co_ci_u32_e32 v5, vcc_lo, -1, v2, vcc_lo ; encoding: [0xc1,0x04,0x0a,0x44]
// W64-ERR: :[[@LINE-2]]:1: error: operands are not valid for this GPU or mode

v_subrev_co_ci_u32 v5, vcc_lo, 0.5, v2, vcc_lo
// W32: v_subrev_co_ci_u32_e32 v5, vcc_lo, 0.5, v2, vcc_lo ; encoding: [0xf0,0x04,0x0a,0x44]
// W64-ERR: :[[@LINE-2]]:1: error: operands are not valid for this GPU or mode

v_subrev_co_ci_u32 v5, vcc_lo, exec_hi, v2, vcc_lo
// W32: v_subrev_co_ci_u32_e32 v5, vcc_lo, exec_hi, v2, vcc_lo ; encoding: [0x7f,0x04,0x0a,0x44]
// W64-ERR: :[[@LINE-2]]:1: error: operands are not valid for this GPU or mode

v_subrev_co_ci_u32 v5, vcc_lo, exec_lo, v2, vcc_lo
// W32: v_subrev_co_ci_u32_e32 v5, vcc_lo, exec_lo, v2, vcc_lo ; encoding: [0x7e,0x04,0x0a,0x44]
// W64-ERR: :[[@LINE-2]]:1: error: operands are not valid for this GPU or mode

v_subrev_co_ci_u32 v5, vcc_lo, m0, v2, vcc_lo
// W32: v_subrev_co_ci_u32_e32 v5, vcc_lo, m0, v2, vcc_lo ; encoding: [0x7d,0x04,0x0a,0x44]
// W64-ERR: :[[@LINE-2]]:1: error: operands are not valid for this GPU or mode

v_subrev_co_ci_u32 v5, vcc_lo, null, v2, vcc_lo
// W32: v_subrev_co_ci_u32_e32 v5, vcc_lo, null, v2, vcc_lo ; encoding: [0x7c,0x04,0x0a,0x44]
// W64-ERR: :[[@LINE-2]]:1: error: operands are not valid for this GPU or mode

v_subrev_co_ci_u32 v5, vcc_lo, s1, v2, vcc_lo
// W32: v_subrev_co_ci_u32_e32 v5, vcc_lo, s1, v2, vcc_lo ; encoding: [0x01,0x04,0x0a,0x44]
// W64-ERR: :[[@LINE-2]]:1: error: operands are not valid for this GPU or mode

v_subrev_co_ci_u32 v5, vcc_lo, s105, v2, vcc_lo
// W32: v_subrev_co_ci_u32_e32 v5, vcc_lo, s105, v2, vcc_lo ; encoding: [0x69,0x04,0x0a,0x44]
// W64-ERR: :[[@LINE-2]]:1: error: operands are not valid for this GPU or mode

v_subrev_co_ci_u32 v5, vcc_lo, src_scc, v2, vcc_lo
// W32: v_subrev_co_ci_u32_e32 v5, vcc_lo, src_scc, v2, vcc_lo ; encoding: [0xfd,0x04,0x0a,0x44]
// W64-ERR: :[[@LINE-2]]:1: error: operands are not valid for this GPU or mode

v_subrev_co_ci_u32 v5, vcc_lo, ttmp15, v2, vcc_lo
// W32: v_subrev_co_ci_u32_e32 v5, vcc_lo, ttmp15, v2, vcc_lo ; encoding: [0x7b,0x04,0x0a,0x44]
// W64-ERR: :[[@LINE-2]]:1: error: operands are not valid for this GPU or mode

v_subrev_co_ci_u32 v5, vcc_lo, v1, v2, vcc_lo
// W32: v_subrev_co_ci_u32_e32 v5, vcc_lo, v1, v2, vcc_lo ; encoding: [0x01,0x05,0x0a,0x44]
// W64-ERR: :[[@LINE-2]]:1: error: operands are not valid for this GPU or mode

v_subrev_co_ci_u32 v5, vcc_lo, v255, v2, vcc_lo
// W32: v_subrev_co_ci_u32_e32 v5, vcc_lo, v255, v2, vcc_lo ; encoding: [0xff,0x05,0x0a,0x44]
// W64-ERR: :[[@LINE-2]]:1: error: operands are not valid for this GPU or mode

v_subrev_co_ci_u32 v5, vcc_lo, vcc_hi, v2, vcc_lo
// W32: v_subrev_co_ci_u32_e32 v5, vcc_lo, vcc_hi, v2, vcc_lo ; encoding: [0x6b,0x04,0x0a,0x44]
// W64-ERR: :[[@LINE-2]]:1: error: operands are not valid for this GPU or mode

v_subrev_co_ci_u32 v5, vcc_lo, vcc_lo, v2, vcc_lo
// W32: v_subrev_co_ci_u32_e32 v5, vcc_lo, vcc_lo, v2, vcc_lo ; encoding: [0x6a,0x04,0x0a,0x44]
// W64-ERR: :[[@LINE-2]]:1: error: operands are not valid for this GPU or mode

v_subrev_f16 v127, 0xfe0b, v127
// GFX12: v_subrev_f16_e32 v127, 0xfe0b, v127     ; encoding: [0xff,0xfe,0xfe,0x68,0x0b,0xfe,0x00,0x00]

v_subrev_f16 v5, -1, v2
// GFX12: v_subrev_f16_e32 v5, -1, v2             ; encoding: [0xc1,0x04,0x0a,0x68]

v_subrev_f16 v5, 0.5, v2
// GFX12: v_subrev_f16_e32 v5, 0.5, v2            ; encoding: [0xf0,0x04,0x0a,0x68]

v_subrev_f16 v5, exec_hi, v2
// GFX12: v_subrev_f16_e32 v5, exec_hi, v2        ; encoding: [0x7f,0x04,0x0a,0x68]

v_subrev_f16 v5, exec_lo, v2
// GFX12: v_subrev_f16_e32 v5, exec_lo, v2        ; encoding: [0x7e,0x04,0x0a,0x68]

v_subrev_f16 v5, m0, v2
// GFX12: v_subrev_f16_e32 v5, m0, v2             ; encoding: [0x7d,0x04,0x0a,0x68]

v_subrev_f16 v5, null, v2
// GFX12: v_subrev_f16_e32 v5, null, v2           ; encoding: [0x7c,0x04,0x0a,0x68]

v_subrev_f16 v5, s1, v2
// GFX12: v_subrev_f16_e32 v5, s1, v2             ; encoding: [0x01,0x04,0x0a,0x68]

v_subrev_f16 v5, s105, v2
// GFX12: v_subrev_f16_e32 v5, s105, v2           ; encoding: [0x69,0x04,0x0a,0x68]

v_subrev_f16 v5, src_scc, v2
// GFX12: v_subrev_f16_e32 v5, src_scc, v2        ; encoding: [0xfd,0x04,0x0a,0x68]

v_subrev_f16 v5, ttmp15, v2
// GFX12: v_subrev_f16_e32 v5, ttmp15, v2         ; encoding: [0x7b,0x04,0x0a,0x68]

v_subrev_f16 v5, v1, v2
// GFX12: v_subrev_f16_e32 v5, v1, v2             ; encoding: [0x01,0x05,0x0a,0x68]

v_subrev_f16 v5, v127, v2
// GFX12: v_subrev_f16_e32 v5, v127, v2           ; encoding: [0x7f,0x05,0x0a,0x68]

v_subrev_f16 v5, vcc_hi, v2
// GFX12: v_subrev_f16_e32 v5, vcc_hi, v2         ; encoding: [0x6b,0x04,0x0a,0x68]

v_subrev_f16 v5, vcc_lo, v2
// GFX12: v_subrev_f16_e32 v5, vcc_lo, v2         ; encoding: [0x6a,0x04,0x0a,0x68]

v_subrev_f32 v255, 0xaf123456, v255
// GFX12: v_subrev_f32_e32 v255, 0xaf123456, v255 ; encoding: [0xff,0xfe,0xff,0x0b,0x56,0x34,0x12,0xaf]

v_subrev_f32 v5, -1, v2
// GFX12: v_subrev_f32_e32 v5, -1, v2             ; encoding: [0xc1,0x04,0x0a,0x0a]

v_subrev_f32 v5, 0.5, v2
// GFX12: v_subrev_f32_e32 v5, 0.5, v2            ; encoding: [0xf0,0x04,0x0a,0x0a]

v_subrev_f32 v5, exec_hi, v2
// GFX12: v_subrev_f32_e32 v5, exec_hi, v2        ; encoding: [0x7f,0x04,0x0a,0x0a]

v_subrev_f32 v5, exec_lo, v2
// GFX12: v_subrev_f32_e32 v5, exec_lo, v2        ; encoding: [0x7e,0x04,0x0a,0x0a]

v_subrev_f32 v5, m0, v2
// GFX12: v_subrev_f32_e32 v5, m0, v2             ; encoding: [0x7d,0x04,0x0a,0x0a]

v_subrev_f32 v5, null, v2
// GFX12: v_subrev_f32_e32 v5, null, v2           ; encoding: [0x7c,0x04,0x0a,0x0a]

v_subrev_f32 v5, s1, v2
// GFX12: v_subrev_f32_e32 v5, s1, v2             ; encoding: [0x01,0x04,0x0a,0x0a]

v_subrev_f32 v5, s105, v2
// GFX12: v_subrev_f32_e32 v5, s105, v2           ; encoding: [0x69,0x04,0x0a,0x0a]

v_subrev_f32 v5, src_scc, v2
// GFX12: v_subrev_f32_e32 v5, src_scc, v2        ; encoding: [0xfd,0x04,0x0a,0x0a]

v_subrev_f32 v5, ttmp15, v2
// GFX12: v_subrev_f32_e32 v5, ttmp15, v2         ; encoding: [0x7b,0x04,0x0a,0x0a]

v_subrev_f32 v5, v1, v2
// GFX12: v_subrev_f32_e32 v5, v1, v2             ; encoding: [0x01,0x05,0x0a,0x0a]

v_subrev_f32 v5, v255, v2
// GFX12: v_subrev_f32_e32 v5, v255, v2           ; encoding: [0xff,0x05,0x0a,0x0a]

v_subrev_f32 v5, vcc_hi, v2
// GFX12: v_subrev_f32_e32 v5, vcc_hi, v2         ; encoding: [0x6b,0x04,0x0a,0x0a]

v_subrev_f32 v5, vcc_lo, v2
// GFX12: v_subrev_f32_e32 v5, vcc_lo, v2         ; encoding: [0x6a,0x04,0x0a,0x0a]

v_subrev_nc_u32 v255, 0xaf123456, v255
// GFX12: v_subrev_nc_u32_e32 v255, 0xaf123456, v255 ; encoding: [0xff,0xfe,0xff,0x4f,0x56,0x34,0x12,0xaf]

v_subrev_nc_u32 v5, -1, v2
// GFX12: v_subrev_nc_u32_e32 v5, -1, v2          ; encoding: [0xc1,0x04,0x0a,0x4e]

v_subrev_nc_u32 v5, 0.5, v2
// GFX12: v_subrev_nc_u32_e32 v5, 0.5, v2         ; encoding: [0xf0,0x04,0x0a,0x4e]

v_subrev_nc_u32 v5, exec_hi, v2
// GFX12: v_subrev_nc_u32_e32 v5, exec_hi, v2     ; encoding: [0x7f,0x04,0x0a,0x4e]

v_subrev_nc_u32 v5, exec_lo, v2
// GFX12: v_subrev_nc_u32_e32 v5, exec_lo, v2     ; encoding: [0x7e,0x04,0x0a,0x4e]

v_subrev_nc_u32 v5, m0, v2
// GFX12: v_subrev_nc_u32_e32 v5, m0, v2          ; encoding: [0x7d,0x04,0x0a,0x4e]

v_subrev_nc_u32 v5, null, v2
// GFX12: v_subrev_nc_u32_e32 v5, null, v2        ; encoding: [0x7c,0x04,0x0a,0x4e]

v_subrev_nc_u32 v5, s1, v2
// GFX12: v_subrev_nc_u32_e32 v5, s1, v2          ; encoding: [0x01,0x04,0x0a,0x4e]

v_subrev_nc_u32 v5, s105, v2
// GFX12: v_subrev_nc_u32_e32 v5, s105, v2        ; encoding: [0x69,0x04,0x0a,0x4e]

v_subrev_nc_u32 v5, src_scc, v2
// GFX12: v_subrev_nc_u32_e32 v5, src_scc, v2     ; encoding: [0xfd,0x04,0x0a,0x4e]

v_subrev_nc_u32 v5, ttmp15, v2
// GFX12: v_subrev_nc_u32_e32 v5, ttmp15, v2      ; encoding: [0x7b,0x04,0x0a,0x4e]

v_subrev_nc_u32 v5, v1, v2
// GFX12: v_subrev_nc_u32_e32 v5, v1, v2          ; encoding: [0x01,0x05,0x0a,0x4e]

v_subrev_nc_u32 v5, v255, v2
// GFX12: v_subrev_nc_u32_e32 v5, v255, v2        ; encoding: [0xff,0x05,0x0a,0x4e]

v_subrev_nc_u32 v5, vcc_hi, v2
// GFX12: v_subrev_nc_u32_e32 v5, vcc_hi, v2      ; encoding: [0x6b,0x04,0x0a,0x4e]

v_subrev_nc_u32 v5, vcc_lo, v2
// GFX12: v_subrev_nc_u32_e32 v5, vcc_lo, v2      ; encoding: [0x6a,0x04,0x0a,0x4e]

v_xnor_b32 v255, 0xaf123456, v255
// GFX12: v_xnor_b32_e32 v255, 0xaf123456, v255   ; encoding: [0xff,0xfe,0xff,0x3d,0x56,0x34,0x12,0xaf]

v_xnor_b32 v5, -1, v2
// GFX12: v_xnor_b32_e32 v5, -1, v2               ; encoding: [0xc1,0x04,0x0a,0x3c]

v_xnor_b32 v5, 0.5, v2
// GFX12: v_xnor_b32_e32 v5, 0.5, v2              ; encoding: [0xf0,0x04,0x0a,0x3c]

v_xnor_b32 v5, exec_hi, v2
// GFX12: v_xnor_b32_e32 v5, exec_hi, v2          ; encoding: [0x7f,0x04,0x0a,0x3c]

v_xnor_b32 v5, exec_lo, v2
// GFX12: v_xnor_b32_e32 v5, exec_lo, v2          ; encoding: [0x7e,0x04,0x0a,0x3c]

v_xnor_b32 v5, m0, v2
// GFX12: v_xnor_b32_e32 v5, m0, v2               ; encoding: [0x7d,0x04,0x0a,0x3c]

v_xnor_b32 v5, null, v2
// GFX12: v_xnor_b32_e32 v5, null, v2             ; encoding: [0x7c,0x04,0x0a,0x3c]

v_xnor_b32 v5, s1, v2
// GFX12: v_xnor_b32_e32 v5, s1, v2               ; encoding: [0x01,0x04,0x0a,0x3c]

v_xnor_b32 v5, s105, v2
// GFX12: v_xnor_b32_e32 v5, s105, v2             ; encoding: [0x69,0x04,0x0a,0x3c]

v_xnor_b32 v5, src_scc, v2
// GFX12: v_xnor_b32_e32 v5, src_scc, v2          ; encoding: [0xfd,0x04,0x0a,0x3c]

v_xnor_b32 v5, ttmp15, v2
// GFX12: v_xnor_b32_e32 v5, ttmp15, v2           ; encoding: [0x7b,0x04,0x0a,0x3c]

v_xnor_b32 v5, v1, v2
// GFX12: v_xnor_b32_e32 v5, v1, v2               ; encoding: [0x01,0x05,0x0a,0x3c]

v_xnor_b32 v5, v255, v2
// GFX12: v_xnor_b32_e32 v5, v255, v2             ; encoding: [0xff,0x05,0x0a,0x3c]

v_xnor_b32 v5, vcc_hi, v2
// GFX12: v_xnor_b32_e32 v5, vcc_hi, v2           ; encoding: [0x6b,0x04,0x0a,0x3c]

v_xnor_b32 v5, vcc_lo, v2
// GFX12: v_xnor_b32_e32 v5, vcc_lo, v2           ; encoding: [0x6a,0x04,0x0a,0x3c]

v_xor_b32 v255, 0xaf123456, v255
// GFX12: v_xor_b32_e32 v255, 0xaf123456, v255    ; encoding: [0xff,0xfe,0xff,0x3b,0x56,0x34,0x12,0xaf]

v_xor_b32 v5, -1, v2
// GFX12: v_xor_b32_e32 v5, -1, v2                ; encoding: [0xc1,0x04,0x0a,0x3a]

v_xor_b32 v5, 0.5, v2
// GFX12: v_xor_b32_e32 v5, 0.5, v2               ; encoding: [0xf0,0x04,0x0a,0x3a]

v_xor_b32 v5, exec_hi, v2
// GFX12: v_xor_b32_e32 v5, exec_hi, v2           ; encoding: [0x7f,0x04,0x0a,0x3a]

v_xor_b32 v5, exec_lo, v2
// GFX12: v_xor_b32_e32 v5, exec_lo, v2           ; encoding: [0x7e,0x04,0x0a,0x3a]

v_xor_b32 v5, m0, v2
// GFX12: v_xor_b32_e32 v5, m0, v2                ; encoding: [0x7d,0x04,0x0a,0x3a]

v_xor_b32 v5, null, v2
// GFX12: v_xor_b32_e32 v5, null, v2              ; encoding: [0x7c,0x04,0x0a,0x3a]

v_xor_b32 v5, s1, v2
// GFX12: v_xor_b32_e32 v5, s1, v2                ; encoding: [0x01,0x04,0x0a,0x3a]

v_xor_b32 v5, s105, v2
// GFX12: v_xor_b32_e32 v5, s105, v2              ; encoding: [0x69,0x04,0x0a,0x3a]

v_xor_b32 v5, src_scc, v2
// GFX12: v_xor_b32_e32 v5, src_scc, v2           ; encoding: [0xfd,0x04,0x0a,0x3a]

v_xor_b32 v5, ttmp15, v2
// GFX12: v_xor_b32_e32 v5, ttmp15, v2            ; encoding: [0x7b,0x04,0x0a,0x3a]

v_xor_b32 v5, v1, v2
// GFX12: v_xor_b32_e32 v5, v1, v2                ; encoding: [0x01,0x05,0x0a,0x3a]

v_xor_b32 v5, v255, v2
// GFX12: v_xor_b32_e32 v5, v255, v2              ; encoding: [0xff,0x05,0x0a,0x3a]

v_xor_b32 v5, vcc_hi, v2
// GFX12: v_xor_b32_e32 v5, vcc_hi, v2            ; encoding: [0x6b,0x04,0x0a,0x3a]

v_xor_b32 v5, vcc_lo, v2
// GFX12: v_xor_b32_e32 v5, vcc_lo, v2            ; encoding: [0x6a,0x04,0x0a,0x3a]
